;; amdgpu-corpus repo=ROCm/rocFFT kind=compiled arch=gfx1030 opt=O3
	.text
	.amdgcn_target "amdgcn-amd-amdhsa--gfx1030"
	.amdhsa_code_object_version 6
	.protected	bluestein_single_fwd_len2250_dim1_half_op_CI_CI ; -- Begin function bluestein_single_fwd_len2250_dim1_half_op_CI_CI
	.globl	bluestein_single_fwd_len2250_dim1_half_op_CI_CI
	.p2align	8
	.type	bluestein_single_fwd_len2250_dim1_half_op_CI_CI,@function
bluestein_single_fwd_len2250_dim1_half_op_CI_CI: ; @bluestein_single_fwd_len2250_dim1_half_op_CI_CI
; %bb.0:
	s_load_dwordx4 s[12:15], s[4:5], 0x28
	v_mul_u32_u24_e32 v1, 0x2d9, v0
	v_mov_b32_e32 v51, 0
	s_mov_b32 s0, exec_lo
	v_lshrrev_b32_e32 v1, 16, v1
	v_add_nc_u32_e32 v50, s6, v1
	s_waitcnt lgkmcnt(0)
	v_cmpx_gt_u64_e64 s[12:13], v[50:51]
	s_cbranch_execz .LBB0_31
; %bb.1:
	s_load_dwordx4 s[0:3], s[4:5], 0x18
	v_mul_lo_u16 v1, 0x5a, v1
	v_sub_nc_u16 v2, v0, v1
	v_and_b32_e32 v136, 0xffff, v2
	v_lshlrev_b32_e32 v118, 2, v136
	s_waitcnt lgkmcnt(0)
	s_load_dwordx4 s[8:11], s[0:1], 0x0
	s_load_dwordx2 s[0:1], s[4:5], 0x0
	s_waitcnt lgkmcnt(0)
	s_clause 0x2
	global_load_dword v138, v118, s[0:1]
	global_load_dword v135, v118, s[0:1] offset:1800
	global_load_dword v127, v118, s[0:1] offset:1260
	v_mad_u64_u32 v[0:1], null, s10, v50, 0
	v_mad_u64_u32 v[3:4], null, s8, v136, 0
	v_add_co_u32 v48, s6, s0, v118
	v_add_co_ci_u32_e64 v49, null, s1, 0, s6
	v_mad_u64_u32 v[5:6], null, s11, v50, v[1:2]
	v_add_co_u32 v46, vcc_lo, 0x800, v48
	v_add_co_ci_u32_e32 v47, vcc_lo, 0, v49, vcc_lo
	s_clause 0x1
	global_load_dword v139, v118, s[0:1] offset:900
	global_load_dword v128, v118, s[0:1] offset:360
	s_mul_i32 s1, s9, 0xe1
	v_mad_u64_u32 v[6:7], null, s9, v136, v[4:5]
	v_mov_b32_e32 v1, v5
	s_mul_hi_u32 s6, s8, 0xe1
	s_mul_i32 s0, s8, 0xe1
	s_add_i32 s1, s6, s1
	s_mul_hi_u32 s6, s8, 0xfffff871
	v_lshlrev_b64 v[0:1], 2, v[0:1]
	v_mov_b32_e32 v4, v6
	s_lshl_b64 s[12:13], s[0:1], 2
	s_mul_i32 s1, s9, 0xfffff871
	s_sub_i32 s6, s6, s8
	s_mul_i32 s0, s8, 0xfffff871
	v_lshlrev_b64 v[3:4], 2, v[3:4]
	v_add_co_u32 v0, vcc_lo, s14, v0
	v_add_co_ci_u32_e32 v1, vcc_lo, s15, v1, vcc_lo
	s_add_i32 s1, s6, s1
	v_add_co_u32 v0, vcc_lo, v0, v3
	v_add_co_ci_u32_e32 v1, vcc_lo, v1, v4, vcc_lo
	s_lshl_b64 s[0:1], s[0:1], 2
	v_add_co_u32 v3, vcc_lo, v0, s12
	v_add_co_ci_u32_e32 v4, vcc_lo, s13, v1, vcc_lo
	global_load_dword v7, v[0:1], off
	v_add_co_u32 v0, vcc_lo, v3, s12
	v_add_co_ci_u32_e32 v1, vcc_lo, s13, v4, vcc_lo
	v_add_co_u32 v44, vcc_lo, 0x1000, v48
	v_add_co_ci_u32_e32 v45, vcc_lo, 0, v49, vcc_lo
	s_clause 0x1
	global_load_dword v8, v[3:4], off
	global_load_dword v9, v[0:1], off
	v_add_co_u32 v0, vcc_lo, v0, s12
	v_add_co_ci_u32_e32 v1, vcc_lo, s13, v1, vcc_lo
	v_add_co_u32 v40, vcc_lo, 0x1800, v48
	v_add_co_ci_u32_e32 v41, vcc_lo, 0, v49, vcc_lo
	global_load_dword v137, v[46:47], off offset:652
	global_load_dword v10, v[0:1], off
	v_add_co_u32 v0, vcc_lo, v0, s12
	v_add_co_ci_u32_e32 v1, vcc_lo, s13, v1, vcc_lo
	global_load_dword v134, v[46:47], off offset:1552
	v_add_co_u32 v3, vcc_lo, v0, s12
	v_add_co_ci_u32_e32 v4, vcc_lo, s13, v1, vcc_lo
	global_load_dword v11, v[0:1], off
	s_clause 0x2
	global_load_dword v133, v[44:45], off offset:404
	global_load_dword v132, v[44:45], off offset:1304
	;; [unrolled: 1-line block ×3, first 2 shown]
	global_load_dword v12, v[3:4], off
	v_add_co_u32 v0, vcc_lo, v3, s12
	v_add_co_ci_u32_e32 v1, vcc_lo, s13, v4, vcc_lo
	s_clause 0x2
	global_load_dword v130, v[40:41], off offset:1056
	global_load_dword v129, v[40:41], off offset:1956
	;; [unrolled: 1-line block ×3, first 2 shown]
	v_add_co_u32 v3, vcc_lo, v0, s12
	v_add_co_ci_u32_e32 v4, vcc_lo, s13, v1, vcc_lo
	global_load_dword v13, v[0:1], off
	v_add_co_u32 v0, vcc_lo, v3, s12
	v_add_co_ci_u32_e32 v1, vcc_lo, s13, v4, vcc_lo
	global_load_dword v14, v[3:4], off
	;; [unrolled: 3-line block ×6, first 2 shown]
	v_add_co_u32 v3, vcc_lo, v0, s12
	v_add_co_ci_u32_e32 v4, vcc_lo, s13, v1, vcc_lo
	s_clause 0x2
	global_load_dword v124, v[46:47], off offset:1912
	global_load_dword v125, v[46:47], off offset:1012
	;; [unrolled: 1-line block ×3, first 2 shown]
	global_load_dword v19, v[0:1], off
	global_load_dword v20, v[3:4], off
	v_add_co_u32 v0, vcc_lo, v3, s12
	v_add_co_ci_u32_e32 v1, vcc_lo, s13, v4, vcc_lo
	v_add_co_u32 v42, vcc_lo, 0x2000, v48
	v_add_co_ci_u32_e32 v43, vcc_lo, 0, v49, vcc_lo
	;; [unrolled: 2-line block ×3, first 2 shown]
	global_load_dword v119, v[42:43], off offset:268
	global_load_dword v21, v[0:1], off
	s_clause 0x1
	global_load_dword v120, v[40:41], off offset:1416
	global_load_dword v121, v[40:41], off offset:516
	global_load_dword v22, v[3:4], off
	v_add_co_u32 v0, vcc_lo, v3, s12
	v_add_co_ci_u32_e32 v1, vcc_lo, s13, v4, vcc_lo
	global_load_dword v122, v[44:45], off offset:1664
	v_add_co_u32 v3, vcc_lo, v0, s12
	v_add_co_ci_u32_e32 v4, vcc_lo, s13, v1, vcc_lo
	global_load_dword v23, v[0:1], off
	v_add_co_u32 v5, vcc_lo, v3, s12
	v_add_co_ci_u32_e32 v6, vcc_lo, s13, v4, vcc_lo
	global_load_dword v3, v[3:4], off
	;; [unrolled: 3-line block ×3, first 2 shown]
	global_load_dword v5, v[0:1], off
	s_load_dwordx2 s[6:7], s[4:5], 0x38
	s_load_dwordx4 s[8:11], s[2:3], 0x0
	v_cmp_gt_u16_e32 vcc_lo, 45, v2
	s_waitcnt vmcnt(34)
	v_lshrrev_b32_e32 v6, 16, v7
	v_mul_f16_sdwa v24, v138, v7 dst_sel:DWORD dst_unused:UNUSED_PAD src0_sel:WORD_1 src1_sel:DWORD
	v_mul_f16_sdwa v25, v138, v6 dst_sel:DWORD dst_unused:UNUSED_PAD src0_sel:WORD_1 src1_sel:DWORD
	v_fma_f16 v6, v138, v6, -v24
	s_waitcnt vmcnt(33)
	v_lshrrev_b32_e32 v26, 16, v8
	v_mul_f16_sdwa v27, v139, v8 dst_sel:DWORD dst_unused:UNUSED_PAD src0_sel:WORD_1 src1_sel:DWORD
	v_fmac_f16_e32 v25, v138, v7
	s_waitcnt vmcnt(32)
	v_lshrrev_b32_e32 v24, 16, v9
	v_mul_f16_sdwa v7, v139, v26 dst_sel:DWORD dst_unused:UNUSED_PAD src0_sel:WORD_1 src1_sel:DWORD
	v_fma_f16 v26, v139, v26, -v27
	v_mul_f16_sdwa v27, v135, v9 dst_sel:DWORD dst_unused:UNUSED_PAD src0_sel:WORD_1 src1_sel:DWORD
	v_pack_b32_f16 v6, v25, v6
	v_fmac_f16_e32 v7, v139, v8
	v_mul_f16_sdwa v8, v135, v24 dst_sel:DWORD dst_unused:UNUSED_PAD src0_sel:WORD_1 src1_sel:DWORD
	s_waitcnt vmcnt(30)
	v_lshrrev_b32_e32 v25, 16, v10
	v_mul_f16_sdwa v28, v137, v10 dst_sel:DWORD dst_unused:UNUSED_PAD src0_sel:WORD_1 src1_sel:DWORD
	v_fma_f16 v24, v135, v24, -v27
	v_pack_b32_f16 v7, v7, v26
	v_fmac_f16_e32 v8, v135, v9
	v_mul_f16_sdwa v9, v137, v25 dst_sel:DWORD dst_unused:UNUSED_PAD src0_sel:WORD_1 src1_sel:DWORD
	s_waitcnt vmcnt(28)
	v_lshrrev_b32_e32 v26, 16, v11
	v_mul_f16_sdwa v27, v134, v11 dst_sel:DWORD dst_unused:UNUSED_PAD src0_sel:WORD_1 src1_sel:DWORD
	v_fma_f16 v25, v137, v25, -v28
	ds_write_b32 v118, v7 offset:900
	v_pack_b32_f16 v7, v8, v24
	v_fmac_f16_e32 v9, v137, v10
	v_mul_f16_sdwa v8, v134, v26 dst_sel:DWORD dst_unused:UNUSED_PAD src0_sel:WORD_1 src1_sel:DWORD
	v_fma_f16 v10, v134, v26, -v27
	s_waitcnt vmcnt(24)
	v_lshrrev_b32_e32 v24, 16, v12
	v_mul_f16_sdwa v26, v133, v12 dst_sel:DWORD dst_unused:UNUSED_PAD src0_sel:WORD_1 src1_sel:DWORD
	ds_write_b32 v118, v7 offset:1800
	v_pack_b32_f16 v7, v9, v25
	v_fmac_f16_e32 v8, v134, v11
	v_mul_f16_sdwa v9, v133, v24 dst_sel:DWORD dst_unused:UNUSED_PAD src0_sel:WORD_1 src1_sel:DWORD
	v_fma_f16 v11, v133, v24, -v26
	s_waitcnt vmcnt(20)
	v_lshrrev_b32_e32 v24, 16, v13
	v_mul_f16_sdwa v25, v132, v13 dst_sel:DWORD dst_unused:UNUSED_PAD src0_sel:WORD_1 src1_sel:DWORD
	;; [unrolled: 8-line block ×9, first 2 shown]
	ds_write2_b32 v118, v6, v7 offset1:90
	v_pack_b32_f16 v6, v9, v11
	v_fmac_f16_e32 v8, v126, v19
	v_mul_f16_sdwa v7, v125, v12 dst_sel:DWORD dst_unused:UNUSED_PAD src0_sel:WORD_1 src1_sel:DWORD
	v_fma_f16 v9, v125, v12, -v13
	s_waitcnt vmcnt(8)
	v_lshrrev_b32_e32 v11, 16, v21
	v_mul_f16_sdwa v12, v124, v21 dst_sel:DWORD dst_unused:UNUSED_PAD src0_sel:WORD_1 src1_sel:DWORD
	ds_write_b32 v118, v6 offset:1260
	v_pack_b32_f16 v6, v8, v10
	v_fmac_f16_e32 v7, v125, v20
	v_mul_f16_sdwa v8, v124, v11 dst_sel:DWORD dst_unused:UNUSED_PAD src0_sel:WORD_1 src1_sel:DWORD
	v_fma_f16 v10, v124, v11, -v12
	s_waitcnt vmcnt(5)
	v_lshrrev_b32_e32 v11, 16, v22
	v_mul_f16_sdwa v12, v123, v22 dst_sel:DWORD dst_unused:UNUSED_PAD src0_sel:WORD_1 src1_sel:DWORD
	ds_write_b32 v118, v6 offset:2160
	;; [unrolled: 8-line block ×4, first 2 shown]
	v_pack_b32_f16 v6, v7, v9
	s_waitcnt vmcnt(1)
	v_lshrrev_b32_e32 v7, 16, v4
	s_waitcnt vmcnt(0)
	v_lshrrev_b32_e32 v9, 16, v5
	v_mul_f16_sdwa v13, v121, v11 dst_sel:DWORD dst_unused:UNUSED_PAD src0_sel:WORD_1 src1_sel:DWORD
	v_fma_f16 v11, v121, v11, -v12
	v_mul_f16_sdwa v12, v120, v4 dst_sel:DWORD dst_unused:UNUSED_PAD src0_sel:WORD_1 src1_sel:DWORD
	v_mul_f16_sdwa v14, v120, v7 dst_sel:DWORD dst_unused:UNUSED_PAD src0_sel:WORD_1 src1_sel:DWORD
	;; [unrolled: 1-line block ×4, first 2 shown]
	v_fmac_f16_e32 v8, v122, v23
	v_fmac_f16_e32 v13, v121, v3
	v_fma_f16 v3, v120, v7, -v12
	v_fmac_f16_e32 v14, v120, v4
	v_fmac_f16_e32 v15, v119, v5
	v_fma_f16 v4, v119, v9, -v16
	v_pack_b32_f16 v5, v8, v10
	ds_write_b32 v118, v6 offset:4860
	v_pack_b32_f16 v6, v13, v11
	v_pack_b32_f16 v3, v14, v3
	;; [unrolled: 1-line block ×3, first 2 shown]
	ds_write_b32 v118, v5 offset:5760
	ds_write_b32 v118, v6 offset:6660
	;; [unrolled: 1-line block ×4, first 2 shown]
	s_and_saveexec_b32 s2, vcc_lo
	s_cbranch_execz .LBB0_3
; %bb.2:
	v_add_co_u32 v0, s0, v0, s0
	v_add_co_ci_u32_e64 v1, s0, s1, v1, s0
	v_add_nc_u32_e32 v21, 0x280, v118
	v_add_co_u32 v2, s0, v0, s12
	v_add_co_ci_u32_e64 v3, s0, s13, v1, s0
	global_load_dword v6, v[0:1], off
	v_add_co_u32 v4, s0, v2, s12
	v_add_co_ci_u32_e64 v5, s0, s13, v3, s0
	v_add_nc_u32_e32 v22, 0x980, v118
	v_add_co_u32 v0, s0, v4, s12
	v_add_co_ci_u32_e64 v1, s0, s13, v5, s0
	global_load_dword v7, v[48:49], off offset:720
	global_load_dword v8, v[2:3], off
	global_load_dword v9, v[48:49], off offset:1620
	global_load_dword v4, v[4:5], off
	global_load_dword v5, v[0:1], off
	v_add_co_u32 v0, s0, v0, s12
	v_add_co_ci_u32_e64 v1, s0, s13, v1, s0
	s_clause 0x1
	global_load_dword v10, v[46:47], off offset:472
	global_load_dword v11, v[46:47], off offset:1372
	v_add_co_u32 v2, s0, v0, s12
	v_add_co_ci_u32_e64 v3, s0, s13, v1, s0
	global_load_dword v12, v[0:1], off
	v_add_co_u32 v0, s0, v2, s12
	v_add_co_ci_u32_e64 v1, s0, s13, v3, s0
	global_load_dword v13, v[44:45], off offset:224
	global_load_dword v14, v[2:3], off
	global_load_dword v15, v[44:45], off offset:1124
	global_load_dword v16, v[0:1], off
	v_add_co_u32 v0, s0, v0, s12
	v_add_co_ci_u32_e64 v1, s0, s13, v1, s0
	global_load_dword v17, v[44:45], off offset:2024
	v_add_co_u32 v2, s0, v0, s12
	v_add_co_ci_u32_e64 v3, s0, s13, v1, s0
	global_load_dword v18, v[0:1], off
	v_add_co_u32 v0, s0, v2, s12
	v_add_co_ci_u32_e64 v1, s0, s13, v3, s0
	v_add_nc_u32_e32 v23, 0x1080, v118
	global_load_dword v19, v[40:41], off offset:876
	global_load_dword v2, v[2:3], off
	global_load_dword v0, v[0:1], off
	s_clause 0x1
	global_load_dword v1, v[40:41], off offset:1776
	global_load_dword v3, v[42:43], off offset:628
	v_add_nc_u32_e32 v27, 0x1780, v118
	s_waitcnt vmcnt(19)
	v_lshrrev_b32_e32 v20, 16, v6
	s_waitcnt vmcnt(18)
	v_mul_f16_sdwa v24, v7, v6 dst_sel:DWORD dst_unused:UNUSED_PAD src0_sel:WORD_1 src1_sel:DWORD
	v_mul_f16_sdwa v25, v7, v20 dst_sel:DWORD dst_unused:UNUSED_PAD src0_sel:WORD_1 src1_sel:DWORD
	s_waitcnt vmcnt(17)
	v_lshrrev_b32_e32 v26, 16, v8
	s_waitcnt vmcnt(16)
	v_mul_f16_sdwa v28, v9, v8 dst_sel:DWORD dst_unused:UNUSED_PAD src0_sel:WORD_1 src1_sel:DWORD
	v_fma_f16 v20, v7, v20, -v24
	v_fmac_f16_e32 v25, v7, v6
	v_mul_f16_sdwa v6, v9, v26 dst_sel:DWORD dst_unused:UNUSED_PAD src0_sel:WORD_1 src1_sel:DWORD
	s_waitcnt vmcnt(15)
	v_lshrrev_b32_e32 v7, 16, v4
	v_fma_f16 v24, v9, v26, -v28
	s_waitcnt vmcnt(13)
	v_mul_f16_sdwa v26, v10, v4 dst_sel:DWORD dst_unused:UNUSED_PAD src0_sel:WORD_1 src1_sel:DWORD
	v_pack_b32_f16 v20, v25, v20
	v_fmac_f16_e32 v6, v9, v8
	v_mul_f16_sdwa v8, v10, v7 dst_sel:DWORD dst_unused:UNUSED_PAD src0_sel:WORD_1 src1_sel:DWORD
	v_lshrrev_b32_e32 v9, 16, v5
	v_fma_f16 v7, v10, v7, -v26
	s_waitcnt vmcnt(12)
	v_mul_f16_sdwa v25, v11, v5 dst_sel:DWORD dst_unused:UNUSED_PAD src0_sel:WORD_1 src1_sel:DWORD
	v_pack_b32_f16 v6, v6, v24
	v_fmac_f16_e32 v8, v10, v4
	v_mul_f16_sdwa v4, v11, v9 dst_sel:DWORD dst_unused:UNUSED_PAD src0_sel:WORD_1 src1_sel:DWORD
	s_waitcnt vmcnt(11)
	v_lshrrev_b32_e32 v10, 16, v12
	s_waitcnt vmcnt(10)
	v_mul_f16_sdwa v24, v13, v12 dst_sel:DWORD dst_unused:UNUSED_PAD src0_sel:WORD_1 src1_sel:DWORD
	v_fma_f16 v9, v11, v9, -v25
	v_pack_b32_f16 v7, v8, v7
	v_fmac_f16_e32 v4, v11, v5
	v_mul_f16_sdwa v5, v13, v10 dst_sel:DWORD dst_unused:UNUSED_PAD src0_sel:WORD_1 src1_sel:DWORD
	v_fma_f16 v8, v13, v10, -v24
	s_waitcnt vmcnt(9)
	v_lshrrev_b32_e32 v10, 16, v14
	s_waitcnt vmcnt(8)
	v_mul_f16_sdwa v11, v15, v14 dst_sel:DWORD dst_unused:UNUSED_PAD src0_sel:WORD_1 src1_sel:DWORD
	v_pack_b32_f16 v4, v4, v9
	v_fmac_f16_e32 v5, v13, v12
	s_waitcnt vmcnt(7)
	v_lshrrev_b32_e32 v9, 16, v16
	v_mul_f16_sdwa v12, v15, v10 dst_sel:DWORD dst_unused:UNUSED_PAD src0_sel:WORD_1 src1_sel:DWORD
	v_fma_f16 v10, v15, v10, -v11
	s_waitcnt vmcnt(6)
	v_mul_f16_sdwa v11, v17, v16 dst_sel:DWORD dst_unused:UNUSED_PAD src0_sel:WORD_1 src1_sel:DWORD
	v_pack_b32_f16 v5, v5, v8
	v_mul_f16_sdwa v8, v17, v9 dst_sel:DWORD dst_unused:UNUSED_PAD src0_sel:WORD_1 src1_sel:DWORD
	s_waitcnt vmcnt(5)
	v_lshrrev_b32_e32 v13, 16, v18
	v_fmac_f16_e32 v12, v15, v14
	v_fma_f16 v9, v17, v9, -v11
	s_waitcnt vmcnt(4)
	v_mul_f16_sdwa v11, v19, v18 dst_sel:DWORD dst_unused:UNUSED_PAD src0_sel:WORD_1 src1_sel:DWORD
	v_fmac_f16_e32 v8, v17, v16
	s_waitcnt vmcnt(3)
	v_lshrrev_b32_e32 v14, 16, v2
	s_waitcnt vmcnt(2)
	v_lshrrev_b32_e32 v16, 16, v0
	v_mul_f16_sdwa v15, v19, v13 dst_sel:DWORD dst_unused:UNUSED_PAD src0_sel:WORD_1 src1_sel:DWORD
	v_fma_f16 v11, v19, v13, -v11
	s_waitcnt vmcnt(1)
	v_mul_f16_sdwa v13, v1, v2 dst_sel:DWORD dst_unused:UNUSED_PAD src0_sel:WORD_1 src1_sel:DWORD
	v_mul_f16_sdwa v17, v1, v14 dst_sel:DWORD dst_unused:UNUSED_PAD src0_sel:WORD_1 src1_sel:DWORD
	s_waitcnt vmcnt(0)
	v_mul_f16_sdwa v24, v3, v0 dst_sel:DWORD dst_unused:UNUSED_PAD src0_sel:WORD_1 src1_sel:DWORD
	v_mul_f16_sdwa v25, v3, v16 dst_sel:DWORD dst_unused:UNUSED_PAD src0_sel:WORD_1 src1_sel:DWORD
	v_fmac_f16_e32 v15, v19, v18
	v_fma_f16 v13, v1, v14, -v13
	v_fmac_f16_e32 v17, v1, v2
	v_fma_f16 v1, v3, v16, -v24
	v_fmac_f16_e32 v25, v3, v0
	v_pack_b32_f16 v0, v12, v10
	v_pack_b32_f16 v2, v8, v9
	;; [unrolled: 1-line block ×5, first 2 shown]
	v_add_nc_u32_e32 v9, 0x1e80, v118
	ds_write2_b32 v21, v20, v6 offset0:20 offset1:245
	ds_write2_b32 v22, v7, v4 offset0:22 offset1:247
	;; [unrolled: 1-line block ×5, first 2 shown]
.LBB0_3:
	s_or_b32 exec_lo, exec_lo, s2
	v_add_nc_u32_e32 v0, 0x200, v118
	v_add_nc_u32_e32 v1, 0x600, v118
	;; [unrolled: 1-line block ×4, first 2 shown]
	s_waitcnt lgkmcnt(0)
	s_barrier
	buffer_gl0_inv
	ds_read2_b32 v[28:29], v118 offset1:90
	ds_read2_b32 v[22:23], v0 offset0:97 offset1:187
	ds_read2_b32 v[26:27], v1 offset0:66 offset1:156
	;; [unrolled: 1-line block ×4, first 2 shown]
	v_add_nc_u32_e32 v0, 0x1000, v118
	v_add_nc_u32_e32 v1, 0x1400, v118
	;; [unrolled: 1-line block ×5, first 2 shown]
	ds_read2_b32 v[10:11], v0 offset0:101 offset1:191
	ds_read2_b32 v[4:5], v1 offset0:70 offset1:160
	;; [unrolled: 1-line block ×5, first 2 shown]
                                        ; implicit-def: $vgpr20
                                        ; implicit-def: $vgpr18
                                        ; implicit-def: $vgpr16
                                        ; implicit-def: $vgpr14
                                        ; implicit-def: $vgpr12
	s_and_saveexec_b32 s0, vcc_lo
	s_cbranch_execz .LBB0_5
; %bb.4:
	v_add_nc_u32_e32 v12, 0x280, v118
	v_add_nc_u32_e32 v13, 0x980, v118
	;; [unrolled: 1-line block ×5, first 2 shown]
	ds_read2_b32 v[20:21], v12 offset0:20 offset1:245
	ds_read2_b32 v[18:19], v13 offset0:22 offset1:247
	;; [unrolled: 1-line block ×5, first 2 shown]
.LBB0_5:
	s_or_b32 exec_lo, exec_lo, s0
	s_waitcnt lgkmcnt(3)
	v_add_f16_e32 v31, v8, v4
	s_waitcnt lgkmcnt(1)
	v_sub_f16_sdwa v32, v26, v0 dst_sel:DWORD dst_unused:UNUSED_PAD src0_sel:WORD_1 src1_sel:WORD_1
	v_sub_f16_sdwa v33, v8, v4 dst_sel:DWORD dst_unused:UNUSED_PAD src0_sel:WORD_1 src1_sel:WORD_1
	v_add_f16_e32 v34, v26, v0
	v_sub_f16_e32 v36, v26, v8
	v_fma_f16 v35, -0.5, v31, v28
	v_sub_f16_e32 v31, v0, v4
	v_pk_add_f16 v30, v28, v26
	v_add_f16_sdwa v37, v8, v4 dst_sel:DWORD dst_unused:UNUSED_PAD src0_sel:WORD_1 src1_sel:WORD_1
	v_fma_f16 v39, -0.5, v34, v28
	v_fmamk_f16 v38, v32, 0x3b9c, v35
	v_fmac_f16_e32 v35, 0xbb9c, v32
	v_lshrrev_b32_e32 v51, 16, v28
	v_add_f16_e32 v28, v36, v31
	v_fmamk_f16 v31, v33, 0xbb9c, v39
	v_fmac_f16_e32 v38, 0x38b4, v33
	v_fmac_f16_e32 v35, 0xb8b4, v33
	v_sub_f16_e32 v34, v26, v0
	v_fma_f16 v52, -0.5, v37, v51
	v_sub_f16_e32 v36, v8, v26
	v_fmac_f16_e32 v38, 0x34f2, v28
	v_fmac_f16_e32 v35, 0x34f2, v28
	v_sub_f16_e32 v28, v4, v0
	v_fmac_f16_e32 v39, 0x3b9c, v33
	v_fmac_f16_e32 v31, 0x38b4, v32
	v_fmamk_f16 v33, v34, 0xbb9c, v52
	v_sub_f16_e32 v37, v8, v4
	v_sub_f16_sdwa v53, v26, v8 dst_sel:DWORD dst_unused:UNUSED_PAD src0_sel:WORD_1 src1_sel:WORD_1
	v_sub_f16_sdwa v54, v0, v4 dst_sel:DWORD dst_unused:UNUSED_PAD src0_sel:WORD_1 src1_sel:WORD_1
	v_add_f16_e32 v28, v36, v28
	v_fmac_f16_e32 v39, 0xb8b4, v32
	v_add_f16_sdwa v32, v26, v0 dst_sel:DWORD dst_unused:UNUSED_PAD src0_sel:WORD_1 src1_sel:WORD_1
	v_fmac_f16_e32 v52, 0x3b9c, v34
	v_fmac_f16_e32 v33, 0xb8b4, v37
	v_add_f16_e32 v36, v53, v54
	v_fmac_f16_e32 v31, 0x34f2, v28
	v_fmac_f16_e32 v51, -0.5, v32
	v_fmac_f16_e32 v39, 0x34f2, v28
	v_add_f16_e32 v28, v10, v6
	v_fmac_f16_e32 v52, 0x38b4, v37
	v_fmac_f16_e32 v33, 0x34f2, v36
	v_fmamk_f16 v53, v37, 0x3b9c, v51
	v_sub_f16_sdwa v26, v8, v26 dst_sel:DWORD dst_unused:UNUSED_PAD src0_sel:WORD_1 src1_sel:WORD_1
	v_sub_f16_sdwa v32, v4, v0 dst_sel:DWORD dst_unused:UNUSED_PAD src0_sel:WORD_1 src1_sel:WORD_1
	v_fma_f16 v28, -0.5, v28, v22
	s_waitcnt lgkmcnt(0)
	v_sub_f16_sdwa v54, v24, v2 dst_sel:DWORD dst_unused:UNUSED_PAD src0_sel:WORD_1 src1_sel:WORD_1
	v_fmac_f16_e32 v52, 0x34f2, v36
	v_fmac_f16_e32 v51, 0xbb9c, v37
	v_add_f16_e32 v36, v24, v2
	v_sub_f16_e32 v55, v2, v6
	v_sub_f16_e32 v56, v24, v10
	v_fmac_f16_e32 v53, 0xb8b4, v34
	v_add_f16_e32 v26, v26, v32
	v_fmamk_f16 v32, v54, 0x3b9c, v28
	v_sub_f16_sdwa v37, v10, v6 dst_sel:DWORD dst_unused:UNUSED_PAD src0_sel:WORD_1 src1_sel:WORD_1
	v_fma_f16 v36, -0.5, v36, v22
	v_fmac_f16_e32 v51, 0x38b4, v34
	v_add_f16_e32 v34, v56, v55
	v_fmac_f16_e32 v28, 0xbb9c, v54
	v_add_f16_sdwa v55, v10, v6 dst_sel:DWORD dst_unused:UNUSED_PAD src0_sel:WORD_1 src1_sel:WORD_1
	v_lshrrev_b32_e32 v57, 16, v22
	v_add_f16_sdwa v59, v24, v2 dst_sel:DWORD dst_unused:UNUSED_PAD src0_sel:WORD_1 src1_sel:WORD_1
	v_fmac_f16_e32 v53, 0x34f2, v26
	v_fmac_f16_e32 v32, 0x38b4, v37
	v_fmamk_f16 v56, v37, 0xbb9c, v36
	v_fmac_f16_e32 v51, 0x34f2, v26
	v_pk_add_f16 v26, v22, v24
	v_fmac_f16_e32 v28, 0xb8b4, v37
	v_sub_f16_e32 v22, v6, v2
	v_sub_f16_e32 v58, v10, v24
	v_fmac_f16_e32 v36, 0x3b9c, v37
	v_fma_f16 v37, -0.5, v55, v57
	v_sub_f16_e32 v60, v10, v6
	v_fmac_f16_e32 v57, -0.5, v59
	v_sub_f16_e32 v55, v24, v2
	v_add_f16_e32 v22, v58, v22
	v_sub_f16_sdwa v58, v24, v10 dst_sel:DWORD dst_unused:UNUSED_PAD src0_sel:WORD_1 src1_sel:WORD_1
	v_sub_f16_sdwa v24, v10, v24 dst_sel:DWORD dst_unused:UNUSED_PAD src0_sel:WORD_1 src1_sel:WORD_1
	v_fmamk_f16 v59, v60, 0x3b9c, v57
	v_sub_f16_sdwa v61, v6, v2 dst_sel:DWORD dst_unused:UNUSED_PAD src0_sel:WORD_1 src1_sel:WORD_1
	v_fmac_f16_e32 v56, 0x38b4, v54
	v_fmac_f16_e32 v36, 0xb8b4, v54
	v_fmamk_f16 v54, v55, 0xbb9c, v37
	v_fmac_f16_e32 v59, 0xb8b4, v55
	v_add_f16_e32 v24, v24, v61
	v_sub_f16_sdwa v62, v2, v6 dst_sel:DWORD dst_unused:UNUSED_PAD src0_sel:WORD_1 src1_sel:WORD_1
	v_fmac_f16_e32 v57, 0xbb9c, v60
	v_fmac_f16_e32 v37, 0x3b9c, v55
	;; [unrolled: 1-line block ×5, first 2 shown]
	v_add_f16_e32 v58, v58, v62
	v_fmac_f16_e32 v56, 0x34f2, v22
	v_fmac_f16_e32 v36, 0x34f2, v22
	;; [unrolled: 1-line block ×3, first 2 shown]
	v_mul_f16_e32 v62, 0x3b9c, v59
	v_fmac_f16_e32 v37, 0x38b4, v60
	v_fmac_f16_e32 v28, 0x34f2, v34
	;; [unrolled: 1-line block ×3, first 2 shown]
	v_mul_f16_e32 v61, 0x3a79, v32
	v_fmac_f16_e32 v57, 0x34f2, v24
	v_mul_f16_e32 v22, 0x34f2, v36
	v_fmac_f16_e32 v62, 0x34f2, v56
	v_fmac_f16_e32 v37, 0x34f2, v58
	v_mul_f16_e32 v24, 0x3a79, v28
	v_mul_f16_e32 v56, 0xbb9c, v56
	v_fmac_f16_e32 v61, 0x38b4, v54
	v_fma_f16 v60, v57, 0x3b9c, -v22
	v_mul_f16_e32 v63, 0xb8b4, v32
	v_fma_f16 v64, v37, 0x38b4, -v24
	v_mul_f16_e32 v32, 0x34f2, v57
	v_mul_f16_e32 v37, 0x3a79, v37
	v_fmac_f16_e32 v56, 0x34f2, v59
	v_add_f16_e32 v65, v9, v5
	v_add_f16_e32 v22, v38, v61
	;; [unrolled: 1-line block ×4, first 2 shown]
	v_fmac_f16_e32 v63, 0x3a79, v54
	v_fma_f16 v54, v36, 0xbb9c, -v32
	v_fma_f16 v57, v28, 0xb8b4, -v37
	v_add_f16_e32 v58, v53, v56
	v_sub_f16_e32 v36, v38, v61
	v_sub_f16_e32 v37, v31, v62
	v_fma_f16 v61, -0.5, v65, v29
	v_sub_f16_sdwa v62, v27, v1 dst_sel:DWORD dst_unused:UNUSED_PAD src0_sel:WORD_1 src1_sel:WORD_1
	v_sub_f16_e32 v31, v39, v60
	v_sub_f16_e32 v39, v53, v56
	v_add_f16_e32 v53, v27, v1
	v_add_f16_e32 v24, v35, v64
	;; [unrolled: 1-line block ×5, first 2 shown]
	v_sub_f16_e32 v35, v35, v64
	v_sub_f16_e32 v38, v33, v63
	v_fmamk_f16 v33, v62, 0x3b9c, v61
	v_sub_f16_sdwa v63, v9, v5 dst_sel:DWORD dst_unused:UNUSED_PAD src0_sel:WORD_1 src1_sel:WORD_1
	v_sub_f16_e32 v56, v51, v54
	v_sub_f16_e32 v57, v52, v57
	v_pk_add_f16 v60, v29, v27
	v_fma_f16 v51, -0.5, v53, v29
	v_sub_f16_e32 v52, v1, v5
	v_sub_f16_e32 v53, v27, v9
	v_fmac_f16_e32 v61, 0xbb9c, v62
	v_sub_f16_e32 v64, v5, v1
	v_sub_f16_e32 v65, v9, v27
	v_add_f16_sdwa v66, v9, v5 dst_sel:DWORD dst_unused:UNUSED_PAD src0_sel:WORD_1 src1_sel:WORD_1
	v_lshrrev_b32_e32 v29, 16, v29
	v_fmac_f16_e32 v33, 0x38b4, v63
	v_fmamk_f16 v54, v63, 0xbb9c, v51
	v_add_f16_e32 v52, v53, v52
	v_fmac_f16_e32 v61, 0xb8b4, v63
	v_add_f16_e32 v53, v65, v64
	v_fma_f16 v64, -0.5, v66, v29
	v_sub_f16_e32 v65, v27, v1
	v_fmac_f16_e32 v51, 0x3b9c, v63
	v_add_f16_sdwa v67, v27, v1 dst_sel:DWORD dst_unused:UNUSED_PAD src0_sel:WORD_1 src1_sel:WORD_1
	v_fmac_f16_e32 v54, 0x38b4, v62
	v_fmac_f16_e32 v33, 0x34f2, v52
	;; [unrolled: 1-line block ×3, first 2 shown]
	v_fmamk_f16 v52, v65, 0xbb9c, v64
	v_sub_f16_e32 v63, v9, v5
	v_sub_f16_sdwa v66, v27, v9 dst_sel:DWORD dst_unused:UNUSED_PAD src0_sel:WORD_1 src1_sel:WORD_1
	v_sub_f16_sdwa v68, v1, v5 dst_sel:DWORD dst_unused:UNUSED_PAD src0_sel:WORD_1 src1_sel:WORD_1
	v_fmac_f16_e32 v64, 0x3b9c, v65
	v_fmac_f16_e32 v51, 0xb8b4, v62
	v_fmac_f16_e32 v29, -0.5, v67
	v_fmac_f16_e32 v54, 0x34f2, v53
	v_fmac_f16_e32 v52, 0xb8b4, v63
	v_add_f16_e32 v62, v66, v68
	v_fmac_f16_e32 v64, 0x38b4, v63
	v_add_f16_e32 v66, v11, v7
	v_fmac_f16_e32 v51, 0x34f2, v53
	v_fmamk_f16 v53, v63, 0x3b9c, v29
	v_fmac_f16_e32 v29, 0xbb9c, v63
	v_sub_f16_e32 v69, v3, v7
	v_sub_f16_e32 v70, v25, v11
	v_fmac_f16_e32 v52, 0x34f2, v62
	v_fmac_f16_e32 v64, 0x34f2, v62
	v_fma_f16 v62, -0.5, v66, v23
	v_sub_f16_sdwa v66, v25, v3 dst_sel:DWORD dst_unused:UNUSED_PAD src0_sel:WORD_1 src1_sel:WORD_1
	v_fmac_f16_e32 v53, 0xb8b4, v65
	v_sub_f16_sdwa v27, v9, v27 dst_sel:DWORD dst_unused:UNUSED_PAD src0_sel:WORD_1 src1_sel:WORD_1
	v_sub_f16_sdwa v67, v5, v1 dst_sel:DWORD dst_unused:UNUSED_PAD src0_sel:WORD_1 src1_sel:WORD_1
	v_add_f16_e32 v71, v25, v3
	v_fmac_f16_e32 v29, 0x38b4, v65
	v_add_f16_e32 v65, v70, v69
	v_sub_f16_e32 v69, v7, v3
	v_sub_f16_e32 v70, v11, v25
	v_fmamk_f16 v63, v66, 0x3b9c, v62
	v_sub_f16_sdwa v68, v11, v7 dst_sel:DWORD dst_unused:UNUSED_PAD src0_sel:WORD_1 src1_sel:WORD_1
	v_add_f16_e32 v27, v27, v67
	v_fma_f16 v67, -0.5, v71, v23
	v_fmac_f16_e32 v62, 0xbb9c, v66
	v_add_f16_sdwa v71, v11, v7 dst_sel:DWORD dst_unused:UNUSED_PAD src0_sel:WORD_1 src1_sel:WORD_1
	v_lshrrev_b32_e32 v72, 16, v23
	v_add_f16_e32 v69, v70, v69
	v_add_f16_sdwa v70, v25, v3 dst_sel:DWORD dst_unused:UNUSED_PAD src0_sel:WORD_1 src1_sel:WORD_1
	v_fmac_f16_e32 v63, 0x38b4, v68
	v_fmac_f16_e32 v53, 0x34f2, v27
	;; [unrolled: 1-line block ×3, first 2 shown]
	v_fmamk_f16 v27, v68, 0xbb9c, v67
	v_fmac_f16_e32 v62, 0xb8b4, v68
	v_fmac_f16_e32 v67, 0x3b9c, v68
	v_fma_f16 v68, -0.5, v71, v72
	v_sub_f16_e32 v73, v11, v7
	v_fmac_f16_e32 v72, -0.5, v70
	v_sub_f16_e32 v71, v25, v3
	v_fmac_f16_e32 v67, 0xb8b4, v66
	v_sub_f16_sdwa v75, v11, v25 dst_sel:DWORD dst_unused:UNUSED_PAD src0_sel:WORD_1 src1_sel:WORD_1
	v_sub_f16_sdwa v76, v7, v3 dst_sel:DWORD dst_unused:UNUSED_PAD src0_sel:WORD_1 src1_sel:WORD_1
	v_fmamk_f16 v74, v73, 0x3b9c, v72
	v_fmac_f16_e32 v72, 0xbb9c, v73
	v_fmac_f16_e32 v27, 0x38b4, v66
	v_fmamk_f16 v66, v71, 0xbb9c, v68
	v_sub_f16_sdwa v70, v25, v11 dst_sel:DWORD dst_unused:UNUSED_PAD src0_sel:WORD_1 src1_sel:WORD_1
	v_sub_f16_sdwa v77, v3, v7 dst_sel:DWORD dst_unused:UNUSED_PAD src0_sel:WORD_1 src1_sel:WORD_1
	v_add_f16_e32 v75, v75, v76
	v_fmac_f16_e32 v68, 0x3b9c, v71
	v_fmac_f16_e32 v72, 0x38b4, v71
	;; [unrolled: 1-line block ×6, first 2 shown]
	v_add_f16_e32 v70, v70, v77
	v_fmac_f16_e32 v68, 0x38b4, v73
	v_fmac_f16_e32 v72, 0x34f2, v75
	v_mul_f16_e32 v73, 0x34f2, v67
	v_fmac_f16_e32 v74, 0x34f2, v75
	v_fmac_f16_e32 v66, 0x34f2, v70
	;; [unrolled: 1-line block ×4, first 2 shown]
	v_fma_f16 v65, v72, 0x3b9c, -v73
	v_pk_add_f16 v73, v23, v25
	v_mul_f16_e32 v25, 0xb8b4, v63
	v_mul_f16_e32 v69, 0x3a79, v63
	;; [unrolled: 1-line block ×4, first 2 shown]
	v_fmac_f16_e32 v68, 0x34f2, v70
	v_fmac_f16_e32 v25, 0x3a79, v66
	;; [unrolled: 1-line block ×4, first 2 shown]
	v_mul_f16_e32 v70, 0x3a79, v62
	v_mul_f16_e32 v27, 0xbb9c, v27
	v_fma_f16 v63, v67, 0xbb9c, -v63
	v_add_f16_e32 v66, v16, v14
	v_add_f16_e32 v67, v52, v25
	v_sub_f16_e32 v80, v52, v25
	v_add_f16_e32 v25, v18, v12
	v_add_f16_e32 v75, v33, v69
	;; [unrolled: 1-line block ×4, first 2 shown]
	v_fma_f16 v23, v68, 0x38b4, -v70
	v_mul_f16_e32 v68, 0x3a79, v68
	v_fmac_f16_e32 v27, 0x34f2, v74
	v_add_f16_e32 v72, v29, v63
	v_fma_f16 v66, -0.5, v66, v20
	v_sub_f16_sdwa v78, v18, v12 dst_sel:DWORD dst_unused:UNUSED_PAD src0_sel:WORD_1 src1_sel:WORD_1
	v_sub_f16_e32 v69, v33, v69
	v_sub_f16_e32 v71, v54, v71
	;; [unrolled: 1-line block ×3, first 2 shown]
	v_sub_f16_sdwa v33, v16, v14 dst_sel:DWORD dst_unused:UNUSED_PAD src0_sel:WORD_1 src1_sel:WORD_1
	v_sub_f16_e32 v51, v12, v14
	v_sub_f16_e32 v54, v18, v16
	v_sub_f16_e32 v82, v29, v63
	v_fma_f16 v29, -0.5, v25, v20
	v_add_f16_e32 v70, v61, v23
	v_fma_f16 v62, v62, 0xb8b4, -v68
	v_add_f16_e32 v68, v53, v27
	v_sub_f16_e32 v79, v61, v23
	v_fmamk_f16 v23, v78, 0x3b9c, v66
	v_sub_f16_e32 v81, v53, v27
	v_add_f16_e32 v27, v54, v51
	v_pk_add_f16 v51, v20, v18
	v_fmac_f16_e32 v66, 0xbb9c, v78
	v_lshrrev_b32_e32 v61, 16, v20
	v_fmamk_f16 v20, v33, 0xbb9c, v29
	v_sub_f16_e32 v52, v14, v12
	v_sub_f16_e32 v53, v16, v18
	v_fmac_f16_e32 v29, 0x3b9c, v33
	v_fmac_f16_e32 v23, 0x38b4, v33
	;; [unrolled: 1-line block ×4, first 2 shown]
	v_add_f16_e32 v33, v53, v52
	v_fmac_f16_e32 v29, 0xb8b4, v78
	v_fmac_f16_e32 v23, 0x34f2, v27
	v_add_f16_sdwa v25, v16, v14 dst_sel:DWORD dst_unused:UNUSED_PAD src0_sel:WORD_1 src1_sel:WORD_1
	v_add_f16_sdwa v52, v18, v12 dst_sel:DWORD dst_unused:UNUSED_PAD src0_sel:WORD_1 src1_sel:WORD_1
	v_fmac_f16_e32 v66, 0x34f2, v27
	v_fmac_f16_e32 v20, 0x34f2, v33
	;; [unrolled: 1-line block ×3, first 2 shown]
	v_sub_f16_sdwa v27, v18, v16 dst_sel:DWORD dst_unused:UNUSED_PAD src0_sel:WORD_1 src1_sel:WORD_1
	v_sub_f16_sdwa v33, v12, v14 dst_sel:DWORD dst_unused:UNUSED_PAD src0_sel:WORD_1 src1_sel:WORD_1
	v_fma_f16 v83, -0.5, v25, v61
	v_sub_f16_e32 v25, v18, v12
	v_sub_f16_e32 v53, v16, v14
	v_fmac_f16_e32 v61, -0.5, v52
	v_sub_f16_sdwa v18, v16, v18 dst_sel:DWORD dst_unused:UNUSED_PAD src0_sel:WORD_1 src1_sel:WORD_1
	v_sub_f16_sdwa v52, v14, v12 dst_sel:DWORD dst_unused:UNUSED_PAD src0_sel:WORD_1 src1_sel:WORD_1
	v_add_f16_e32 v27, v27, v33
	v_add_f16_e32 v33, v17, v15
	;; [unrolled: 1-line block ×3, first 2 shown]
	v_sub_f16_e32 v64, v64, v62
	v_fmamk_f16 v62, v25, 0xbb9c, v83
	v_fmac_f16_e32 v83, 0x3b9c, v25
	v_fmamk_f16 v63, v53, 0x3b9c, v61
	v_add_f16_e32 v18, v18, v52
	v_fmac_f16_e32 v61, 0xbb9c, v53
	v_fma_f16 v33, -0.5, v33, v21
	v_sub_f16_sdwa v52, v19, v13 dst_sel:DWORD dst_unused:UNUSED_PAD src0_sel:WORD_1 src1_sel:WORD_1
	v_fmac_f16_e32 v62, 0xb8b4, v53
	v_fmac_f16_e32 v83, 0x38b4, v53
	;; [unrolled: 1-line block ×4, first 2 shown]
	v_fmamk_f16 v25, v52, 0x3b9c, v33
	v_sub_f16_sdwa v53, v17, v15 dst_sel:DWORD dst_unused:UNUSED_PAD src0_sel:WORD_1 src1_sel:WORD_1
	v_sub_f16_e32 v54, v13, v15
	v_sub_f16_e32 v78, v19, v17
	v_fmac_f16_e32 v33, 0xbb9c, v52
	v_fmac_f16_e32 v62, 0x34f2, v27
	v_fmac_f16_e32 v83, 0x34f2, v27
	v_fmac_f16_e32 v63, 0x34f2, v18
	v_add_f16_e32 v27, v19, v13
	v_fmac_f16_e32 v61, 0x34f2, v18
	v_fmac_f16_e32 v25, 0x38b4, v53
	v_add_f16_e32 v18, v78, v54
	v_fmac_f16_e32 v33, 0xb8b4, v53
	v_fma_f16 v27, -0.5, v27, v21
	v_sub_f16_e32 v78, v15, v13
	v_pk_add_f16 v16, v51, v16
	v_fmac_f16_e32 v25, 0x34f2, v18
	v_fmac_f16_e32 v33, 0x34f2, v18
	v_pk_add_f16 v18, v21, v19
	v_fmamk_f16 v54, v53, 0xbb9c, v27
	v_fmac_f16_e32 v27, 0x3b9c, v53
	v_sub_f16_e32 v53, v17, v19
	v_lshrrev_b32_e32 v21, 16, v21
	v_pk_add_f16 v18, v18, v17
	v_add_f16_sdwa v51, v19, v13 dst_sel:DWORD dst_unused:UNUSED_PAD src0_sel:WORD_1 src1_sel:WORD_1
	v_add_f16_sdwa v84, v17, v15 dst_sel:DWORD dst_unused:UNUSED_PAD src0_sel:WORD_1 src1_sel:WORD_1
	v_fmac_f16_e32 v54, 0x38b4, v52
	v_add_f16_e32 v53, v53, v78
	v_fmac_f16_e32 v27, 0xb8b4, v52
	v_sub_f16_e32 v52, v19, v13
	v_sub_f16_sdwa v78, v19, v17 dst_sel:DWORD dst_unused:UNUSED_PAD src0_sel:WORD_1 src1_sel:WORD_1
	v_sub_f16_sdwa v19, v17, v19 dst_sel:DWORD dst_unused:UNUSED_PAD src0_sel:WORD_1 src1_sel:WORD_1
	v_pk_add_f16 v14, v16, v14
	v_pk_add_f16 v16, v18, v15
	v_fma_f16 v18, -0.5, v84, v21
	v_sub_f16_e32 v17, v17, v15
	v_sub_f16_sdwa v84, v13, v15 dst_sel:DWORD dst_unused:UNUSED_PAD src0_sel:WORD_1 src1_sel:WORD_1
	v_fmac_f16_e32 v21, -0.5, v51
	v_sub_f16_sdwa v15, v15, v13 dst_sel:DWORD dst_unused:UNUSED_PAD src0_sel:WORD_1 src1_sel:WORD_1
	v_fmac_f16_e32 v54, 0x34f2, v53
	v_fmac_f16_e32 v27, 0x34f2, v53
	v_fmamk_f16 v53, v52, 0xbb9c, v18
	v_add_f16_e32 v78, v78, v84
	v_fmamk_f16 v84, v17, 0x3b9c, v21
	v_fmac_f16_e32 v21, 0xbb9c, v17
	v_fmac_f16_e32 v18, 0x3b9c, v52
	v_pk_add_f16 v8, v30, v8
	v_pk_add_f16 v10, v26, v10
	v_add_co_u32 v100, s0, 0x5a, v136
	v_add_f16_e32 v15, v19, v15
	v_fmac_f16_e32 v84, 0xb8b4, v52
	v_fmac_f16_e32 v21, 0x38b4, v52
	;; [unrolled: 1-line block ×3, first 2 shown]
	v_pk_add_f16 v4, v8, v4
	v_pk_add_f16 v6, v10, v6
	v_add_co_ci_u32_e64 v51, null, 0, 0, s0
	v_add_co_u32 v99, s0, 0xb4, v136
	v_add_co_ci_u32_e64 v19, null, 0, 0, s0
	s_load_dwordx2 s[2:3], s[4:5], 0x8
	v_pk_add_f16 v14, v14, v12
	v_fmac_f16_e32 v53, 0xb8b4, v17
	v_fmac_f16_e32 v84, 0x34f2, v15
	;; [unrolled: 1-line block ×3, first 2 shown]
	v_mul_f16_e32 v12, 0x34f2, v27
	v_fmac_f16_e32 v18, 0x34f2, v78
	v_mul_f16_e32 v19, 0x3a79, v33
	v_pk_add_f16 v26, v60, v9
	v_mul_lo_u16 v9, v136, 10
	v_mov_b32_e32 v30, 2
	v_pk_add_f16 v0, v4, v0
	v_pk_add_f16 v2, v6, v2
	;; [unrolled: 1-line block ×4, first 2 shown]
	v_fmac_f16_e32 v53, 0x34f2, v78
	v_mul_f16_e32 v15, 0x3a79, v25
	v_mul_f16_e32 v16, 0x3b9c, v84
	v_fma_f16 v17, v21, 0x3b9c, -v12
	v_mul_f16_e32 v12, 0x3a79, v18
	v_fma_f16 v78, v18, 0x38b4, -v19
	v_mul_f16_e32 v18, 0xb8b4, v25
	v_mul_f16_e32 v19, 0xbb9c, v54
	;; [unrolled: 1-line block ×3, first 2 shown]
	v_pack_b32_f16 v59, v55, v59
	v_pack_b32_f16 v58, v34, v58
	v_lshlrev_b32_sdwa v149, v30, v9 dst_sel:DWORD dst_unused:UNUSED_PAD src0_sel:DWORD src1_sel:WORD_0
	v_pack_b32_f16 v9, v22, v28
	v_pk_add_f16 v8, v0, v2
	v_pk_add_f16 v6, v0, v2 neg_lo:[0,1] neg_hi:[0,1]
	v_pk_add_f16 v0, v26, v5
	v_pk_add_f16 v2, v4, v7
	v_fmac_f16_e32 v15, 0x38b4, v53
	v_fmac_f16_e32 v16, 0x34f2, v54
	v_fma_f16 v85, v33, 0xb8b4, -v12
	v_fmac_f16_e32 v18, 0x3a79, v53
	v_fmac_f16_e32 v19, 0x34f2, v84
	v_fma_f16 v21, v27, 0xbb9c, -v21
	v_mul_u32_u24_e32 v4, 10, v100
	s_waitcnt lgkmcnt(0)
	s_barrier
	buffer_gl0_inv
	v_pack_b32_f16 v10, v36, v38
	v_pack_b32_f16 v11, v37, v39
	;; [unrolled: 1-line block ×3, first 2 shown]
	ds_write2_b64 v149, v[8:9], v[58:59] offset1:1
	v_pk_add_f16 v7, v0, v1
	v_pk_add_f16 v8, v2, v3
	v_add_f16_e32 v25, v66, v78
	v_add_f16_e32 v27, v83, v85
	v_sub_f16_e32 v33, v23, v15
	v_sub_f16_e32 v52, v20, v16
	;; [unrolled: 1-line block ×4, first 2 shown]
	v_pk_add_f16 v12, v14, v13 neg_lo:[0,1] neg_hi:[0,1]
	v_sub_f16_e32 v34, v62, v18
	v_sub_f16_e32 v147, v83, v85
	;; [unrolled: 1-line block ×4, first 2 shown]
	v_pack_b32_f16 v1, v35, v57
	v_pack_b32_f16 v0, v31, v56
	v_lshlrev_b32_e32 v154, 2, v4
	v_mul_u32_u24_e32 v140, 10, v99
	ds_write2_b64 v149, v[5:6], v[10:11] offset0:2 offset1:3
	v_pk_add_f16 v2, v7, v8
	v_pack_b32_f16 v3, v75, v67
	v_pack_b32_f16 v5, v77, v72
	;; [unrolled: 1-line block ×3, first 2 shown]
	v_pk_add_f16 v7, v7, v8 neg_lo:[0,1] neg_hi:[0,1]
	v_pack_b32_f16 v8, v69, v80
	v_pack_b32_f16 v9, v71, v81
	v_pack_b32_f16 v6, v70, v74
	v_pack_b32_f16 v11, v79, v64
	v_pack_b32_f16 v10, v65, v82
	ds_write_b64 v149, v[0:1] offset:32
	ds_write2_b64 v154, v[2:3], v[4:5] offset1:1
	ds_write2_b64 v154, v[6:7], v[8:9] offset0:2 offset1:3
	ds_write_b64 v154, v[10:11] offset:32
	s_and_saveexec_b32 s0, vcc_lo
	s_cbranch_execz .LBB0_7
; %bb.6:
	v_add_f16_e32 v1, v61, v21
	v_add_f16_e32 v2, v63, v19
	;; [unrolled: 1-line block ×6, first 2 shown]
	v_lshlrev_b32_e32 v8, 2, v140
	v_pk_add_f16 v0, v14, v13
	v_pack_b32_f16 v3, v3, v1
	v_pack_b32_f16 v2, v5, v2
	;; [unrolled: 1-line block ×3, first 2 shown]
	v_perm_b32 v5, v145, v52, 0x5040100
	v_perm_b32 v4, v34, v33, 0x5040100
	;; [unrolled: 1-line block ×5, first 2 shown]
	ds_write2_b64 v8, v[0:1], v[2:3] offset1:1
	ds_write2_b64 v8, v[11:12], v[4:5] offset0:2 offset1:3
	ds_write_b64 v8, v[6:7] offset:32
.LBB0_7:
	s_or_b32 exec_lo, exec_lo, s0
	v_add_nc_u32_e32 v2, 0xa00, v118
	s_waitcnt lgkmcnt(0)
	s_barrier
	buffer_gl0_inv
	ds_read2_b32 v[0:1], v118 offset1:90
	ds_read2_b32 v[8:9], v2 offset0:110 offset1:200
	v_add_nc_u32_e32 v2, 0x1600, v118
	v_add_nc_u32_e32 v3, 0x200, v118
	;; [unrolled: 1-line block ×5, first 2 shown]
	ds_read2_b32 v[19:20], v2 offset0:92 offset1:182
	ds_read2_b32 v[4:5], v3 offset0:52 offset1:142
	;; [unrolled: 1-line block ×5, first 2 shown]
	v_add_nc_u32_e32 v6, 0x1000, v118
	v_add_nc_u32_e32 v7, 0x1c00, v118
	;; [unrolled: 1-line block ×5, first 2 shown]
	ds_read2_b32 v[23:24], v6 offset0:86 offset1:176
	ds_read2_b32 v[21:22], v7 offset0:68 offset1:158
	;; [unrolled: 1-line block ×5, first 2 shown]
	v_cmp_gt_u16_e64 s0, 30, v136
	s_and_saveexec_b32 s1, s0
	s_cbranch_execz .LBB0_9
; %bb.8:
	ds_read_b32 v25, v118 offset:2880
	ds_read_b32 v33, v118 offset:8880
	;; [unrolled: 1-line block ×3, first 2 shown]
	s_waitcnt lgkmcnt(2)
	v_lshrrev_b32_e32 v27, 16, v25
	s_waitcnt lgkmcnt(1)
	v_lshrrev_b32_e32 v34, 16, v33
.LBB0_9:
	s_or_b32 exec_lo, exec_lo, s1
	v_and_b32_e32 v26, 0xff, v136
	v_and_b32_e32 v32, 0xff, v100
	v_mov_b32_e32 v36, 0xcccd
	v_add_co_u32 v28, s1, 0x10e, v136
	v_mul_lo_u16 v26, 0xcd, v26
	v_mul_lo_u16 v30, 0xcd, v32
	v_mul_u32_u24_sdwa v38, v99, v36 dst_sel:DWORD dst_unused:UNUSED_PAD src0_sel:WORD_0 src1_sel:DWORD
	v_mul_u32_u24_sdwa v39, v28, v36 dst_sel:DWORD dst_unused:UNUSED_PAD src0_sel:WORD_0 src1_sel:DWORD
	v_add_co_ci_u32_e64 v29, null, 0, 0, s1
	v_lshrrev_b16 v35, 11, v26
	v_lshrrev_b16 v37, 11, v30
	v_add_co_u32 v30, s1, 0x168, v136
	v_add_nc_u16 v74, v136, 0x1c2
	v_mul_lo_u16 v26, v35, 10
	v_mul_lo_u16 v55, v37, 10
	v_lshrrev_b32_e32 v38, 19, v38
	v_lshrrev_b32_e32 v39, 19, v39
	v_add_co_u32 v73, null, 0x21c, v136
	v_sub_nc_u16 v26, v136, v26
	v_sub_nc_u16 v55, v100, v55
	v_mul_u32_u24_sdwa v57, v30, v36 dst_sel:DWORD dst_unused:UNUSED_PAD src0_sel:WORD_0 src1_sel:DWORD
	v_mul_u32_u24_sdwa v59, v74, v36 dst_sel:DWORD dst_unused:UNUSED_PAD src0_sel:WORD_0 src1_sel:DWORD
	v_add_nc_u16 v77, v136, 0x276
	v_and_b32_e32 v75, 0xff, v26
	v_mul_lo_u16 v26, v38, 10
	v_and_b32_e32 v76, 0xff, v55
	v_mul_lo_u16 v55, v39, 10
	v_lshrrev_b32_e32 v81, 19, v57
	v_lshrrev_b32_e32 v82, 19, v59
	v_mul_u32_u24_sdwa v61, v73, v36 dst_sel:DWORD dst_unused:UNUSED_PAD src0_sel:WORD_0 src1_sel:DWORD
	v_add_nc_u16 v78, v136, 0x2d0
	v_sub_nc_u16 v79, v99, v26
	v_sub_nc_u16 v80, v28, v55
	v_mul_u32_u24_sdwa v62, v77, v36 dst_sel:DWORD dst_unused:UNUSED_PAD src0_sel:WORD_0 src1_sel:DWORD
	v_lshlrev_b32_e32 v56, 3, v75
	v_mul_lo_u16 v59, v81, 10
	v_mul_lo_u16 v60, v82, 10
	v_lshrrev_b32_e32 v85, 19, v61
	v_mul_u32_u24_sdwa v36, v78, v36 dst_sel:DWORD dst_unused:UNUSED_PAD src0_sel:WORD_0 src1_sel:DWORD
	v_lshlrev_b16 v55, 1, v79
	v_mov_b32_e32 v26, 2
	v_lshlrev_b16 v57, 1, v80
	v_lshrrev_b32_e32 v86, 19, v62
	v_lshlrev_b32_e32 v58, 3, v76
	v_sub_nc_u16 v83, v30, v59
	v_sub_nc_u16 v84, v74, v60
	global_load_dwordx2 v[71:72], v56, s[2:3]
	v_mul_lo_u16 v56, v85, 10
	v_lshrrev_b32_e32 v36, 19, v36
	v_lshlrev_b32_sdwa v55, v26, v55 dst_sel:DWORD dst_unused:UNUSED_PAD src0_sel:DWORD src1_sel:WORD_0
	v_lshlrev_b32_sdwa v57, v26, v57 dst_sel:DWORD dst_unused:UNUSED_PAD src0_sel:DWORD src1_sel:WORD_0
	v_mul_lo_u16 v60, v86, 10
	v_lshlrev_b16 v59, 1, v83
	s_clause 0x2
	global_load_dwordx2 v[69:70], v58, s[2:3]
	global_load_dwordx2 v[67:68], v55, s[2:3]
	;; [unrolled: 1-line block ×3, first 2 shown]
	v_lshlrev_b16 v55, 1, v84
	v_sub_nc_u16 v87, v73, v56
	v_mul_lo_u16 v57, v36, 10
	v_sub_nc_u16 v88, v77, v60
	v_lshlrev_b32_sdwa v56, v26, v59 dst_sel:DWORD dst_unused:UNUSED_PAD src0_sel:DWORD src1_sel:WORD_0
	v_lshlrev_b32_sdwa v55, v26, v55 dst_sel:DWORD dst_unused:UNUSED_PAD src0_sel:DWORD src1_sel:WORD_0
	v_lshlrev_b16 v58, 1, v87
	v_sub_nc_u16 v89, v78, v57
	v_lshlrev_b16 v59, 1, v88
	s_clause 0x1
	global_load_dwordx2 v[63:64], v56, s[2:3]
	global_load_dwordx2 v[61:62], v55, s[2:3]
	v_lshlrev_b32_sdwa v55, v26, v58 dst_sel:DWORD dst_unused:UNUSED_PAD src0_sel:DWORD src1_sel:WORD_0
	v_lshlrev_b16 v56, 1, v89
	v_lshlrev_b32_sdwa v57, v26, v59 dst_sel:DWORD dst_unused:UNUSED_PAD src0_sel:DWORD src1_sel:WORD_0
	v_mov_b32_e32 v113, 30
	s_waitcnt lgkmcnt(10)
	v_lshrrev_b32_e32 v91, 16, v8
	global_load_dwordx2 v[59:60], v55, s[2:3]
	v_lshlrev_b32_sdwa v55, v26, v56 dst_sel:DWORD dst_unused:UNUSED_PAD src0_sel:DWORD src1_sel:WORD_0
	s_clause 0x1
	global_load_dwordx2 v[57:58], v57, s[2:3]
	global_load_dwordx2 v[55:56], v55, s[2:3]
	s_waitcnt lgkmcnt(9)
	v_lshrrev_b32_e32 v92, 16, v19
	v_mul_u32_u24_sdwa v35, v35, v113 dst_sel:DWORD dst_unused:UNUSED_PAD src0_sel:WORD_0 src1_sel:DWORD
	v_mul_u32_u24_sdwa v37, v37, v113 dst_sel:DWORD dst_unused:UNUSED_PAD src0_sel:WORD_0 src1_sel:DWORD
	v_mad_u16 v38, v38, 30, v79
	v_mad_u16 v39, v39, 30, v80
	v_lshrrev_b32_e32 v94, 16, v9
	v_lshrrev_b32_e32 v95, 16, v20
	v_mad_u16 v79, v81, 30, v83
	v_mad_u16 v80, v82, 30, v84
	;; [unrolled: 1-line block ×3, first 2 shown]
	s_waitcnt lgkmcnt(7)
	v_lshrrev_b32_e32 v97, 16, v17
	s_waitcnt lgkmcnt(6)
	v_lshrrev_b32_e32 v98, 16, v15
	v_mad_u16 v82, v86, 30, v88
	v_lshrrev_b32_e32 v101, 16, v18
	v_lshrrev_b32_e32 v102, 16, v16
	s_waitcnt lgkmcnt(4)
	v_lshrrev_b32_e32 v104, 16, v23
	s_waitcnt lgkmcnt(3)
	v_lshrrev_b32_e32 v105, 16, v21
	v_lshrrev_b32_e32 v108, 16, v24
	v_lshrrev_b32_e32 v109, 16, v22
	s_waitcnt lgkmcnt(1)
	v_lshrrev_b32_e32 v111, 16, v13
	s_waitcnt lgkmcnt(0)
	v_lshrrev_b32_e32 v112, 16, v10
	v_lshrrev_b32_e32 v115, 16, v14
	;; [unrolled: 1-line block ×4, first 2 shown]
	v_add_lshl_u32 v153, v35, v75, 2
	v_add_lshl_u32 v152, v37, v76, 2
	v_lshlrev_b32_sdwa v151, v26, v38 dst_sel:DWORD dst_unused:UNUSED_PAD src0_sel:DWORD src1_sel:WORD_0
	v_lshlrev_b32_sdwa v148, v26, v39 dst_sel:DWORD dst_unused:UNUSED_PAD src0_sel:DWORD src1_sel:WORD_0
	;; [unrolled: 1-line block ×6, first 2 shown]
	v_lshrrev_b32_e32 v90, 16, v0
	v_mad_u16 v141, v36, 30, v89
	v_lshrrev_b32_e32 v93, 16, v1
	v_lshrrev_b32_e32 v96, 16, v4
	;; [unrolled: 1-line block ×7, first 2 shown]
	v_add_co_ci_u32_e64 v31, null, 0, 0, s1
	s_waitcnt vmcnt(0)
	s_barrier
	buffer_gl0_inv
	v_mul_f16_sdwa v37, v91, v71 dst_sel:DWORD dst_unused:UNUSED_PAD src0_sel:DWORD src1_sel:WORD_1
	v_mul_f16_sdwa v38, v8, v71 dst_sel:DWORD dst_unused:UNUSED_PAD src0_sel:DWORD src1_sel:WORD_1
	;; [unrolled: 1-line block ×36, first 2 shown]
	v_fma_f16 v37, v8, v71, -v37
	v_fma_f16 v19, v19, v72, -v39
	v_fmac_f16_e32 v38, v91, v71
	v_fmac_f16_e32 v75, v92, v72
	v_fma_f16 v76, v9, v69, -v76
	v_fma_f16 v20, v20, v70, -v80
	v_fmac_f16_e32 v79, v94, v69
	v_fmac_f16_e32 v81, v95, v70
	;; [unrolled: 4-line block ×3, first 2 shown]
	v_fma_f16 v18, v18, v65, -v86
	v_fma_f16 v16, v16, v66, -v88
	v_fma_f16 v23, v23, v63, -v113
	v_fma_f16 v24, v24, v61, -v156
	v_fma_f16 v21, v21, v64, -v157
	v_fma_f16 v22, v22, v62, -v158
	v_fmac_f16_e32 v87, v101, v65
	v_fmac_f16_e32 v89, v102, v66
	;; [unrolled: 1-line block ×6, first 2 shown]
	v_fma_f16 v13, v13, v59, -v162
	v_fmac_f16_e32 v163, v111, v59
	v_fma_f16 v10, v10, v60, -v164
	v_fmac_f16_e32 v165, v112, v60
	;; [unrolled: 2-line block ×6, first 2 shown]
	v_add_f16_e32 v33, v37, v19
	v_sub_f16_e32 v34, v38, v75
	v_add_f16_e32 v39, v90, v38
	v_add_f16_e32 v38, v38, v75
	v_add_f16_e32 v82, v76, v20
	v_sub_f16_e32 v84, v79, v81
	v_add_f16_e32 v86, v93, v79
	v_add_f16_e32 v79, v79, v81
	;; [unrolled: 4-line block ×3, first 2 shown]
	v_add_f16_e32 v12, v0, v37
	v_sub_f16_e32 v37, v37, v19
	v_add_f16_e32 v97, v18, v16
	v_sub_f16_e32 v98, v87, v89
	v_add_f16_e32 v101, v103, v87
	v_add_f16_e32 v87, v87, v89
	;; [unrolled: 1-line block ×4, first 2 shown]
	v_sub_f16_e32 v105, v155, v160
	v_add_f16_e32 v108, v106, v155
	v_add_f16_e32 v109, v155, v160
	;; [unrolled: 1-line block ×5, first 2 shown]
	v_sub_f16_e32 v156, v163, v165
	v_add_f16_e32 v157, v110, v163
	v_add_f16_e32 v158, v163, v165
	;; [unrolled: 1-line block ×3, first 2 shown]
	v_sub_f16_e32 v163, v167, v169
	v_add_f16_e32 v164, v114, v167
	v_add_f16_e32 v166, v167, v169
	;; [unrolled: 1-line block ×4, first 2 shown]
	v_fmac_f16_e32 v90, -0.5, v38
	v_fma_f16 v0, -0.5, v33, v0
	v_add_f16_e32 v80, v1, v76
	v_sub_f16_e32 v76, v76, v20
	v_add_f16_e32 v111, v3, v24
	v_add_f16_e32 v115, v107, v159
	v_fmac_f16_e32 v1, -0.5, v82
	v_fmac_f16_e32 v93, -0.5, v79
	v_add_f16_e32 v88, v4, v17
	v_sub_f16_e32 v17, v17, v15
	v_add_f16_e32 v117, v6, v13
	v_fmac_f16_e32 v96, -0.5, v83
	v_fma_f16 v4, -0.5, v91, v4
	v_add_f16_e32 v95, v5, v18
	v_sub_f16_e32 v18, v18, v16
	v_sub_f16_e32 v23, v23, v21
	;; [unrolled: 1-line block ×5, first 2 shown]
	v_add_f16_e32 v159, v7, v14
	v_sub_f16_e32 v14, v14, v11
	v_sub_f16_e32 v168, v35, v36
	;; [unrolled: 1-line block ×3, first 2 shown]
	v_add_f16_e32 v12, v12, v19
	v_add_f16_e32 v19, v39, v75
	v_fmac_f16_e32 v5, -0.5, v97
	v_add_f16_e32 v75, v101, v89
	v_fmac_f16_e32 v103, -0.5, v87
	v_add_f16_e32 v21, v102, v21
	v_add_f16_e32 v79, v108, v160
	v_fmac_f16_e32 v106, -0.5, v109
	v_fmac_f16_e32 v3, -0.5, v112
	;; [unrolled: 1-line block ×3, first 2 shown]
	v_fma_f16 v2, -0.5, v104, v2
	v_fma_f16 v6, -0.5, v155, v6
	v_fmac_f16_e32 v110, -0.5, v158
	v_fmac_f16_e32 v7, -0.5, v162
	;; [unrolled: 1-line block ×3, first 2 shown]
	v_fma_f16 v101, -0.5, v167, v25
	v_fma_f16 v102, -0.5, v170, v27
	v_fmamk_f16 v82, v34, 0x3aee, v0
	v_fmac_f16_e32 v0, 0xbaee, v34
	v_fmamk_f16 v34, v37, 0xbaee, v90
	v_fmac_f16_e32 v90, 0x3aee, v37
	v_add_f16_e32 v20, v80, v20
	v_add_f16_e32 v38, v86, v81
	;; [unrolled: 1-line block ×4, first 2 shown]
	v_fmamk_f16 v37, v84, 0x3aee, v1
	v_fmamk_f16 v83, v76, 0xbaee, v93
	v_fmac_f16_e32 v1, 0xbaee, v84
	v_fmac_f16_e32 v93, 0x3aee, v76
	v_add_f16_e32 v15, v88, v15
	v_add_f16_e32 v39, v94, v85
	v_add_f16_e32 v10, v117, v10
	v_add_f16_e32 v33, v157, v165
	v_fmamk_f16 v76, v92, 0x3aee, v4
	v_fmamk_f16 v84, v17, 0xbaee, v96
	v_add_f16_e32 v16, v95, v16
	v_add_f16_e32 v11, v159, v11
	;; [unrolled: 1-line block ×3, first 2 shown]
	v_fmac_f16_e32 v4, 0xbaee, v92
	v_fmac_f16_e32 v96, 0x3aee, v17
	v_fmamk_f16 v17, v98, 0x3aee, v5
	v_fmac_f16_e32 v5, 0xbaee, v98
	v_fmamk_f16 v85, v18, 0xbaee, v103
	;; [unrolled: 2-line block ×12, first 2 shown]
	v_fmac_f16_e32 v102, 0x3aee, v171
	v_pack_b32_f16 v12, v12, v19
	v_pack_b32_f16 v19, v21, v79
	;; [unrolled: 1-line block ×24, first 2 shown]
	ds_write2_b32 v153, v12, v21 offset1:10
	ds_write_b32 v153, v0 offset:80
	ds_write2_b32 v152, v14, v22 offset1:10
	ds_write_b32 v152, v1 offset:80
	;; [unrolled: 2-line block ×8, first 2 shown]
	s_and_saveexec_b32 s1, s0
	s_cbranch_execz .LBB0_11
; %bb.10:
	v_add_f16_e32 v0, v27, v35
	v_add_f16_e32 v1, v25, v8
	v_lshlrev_b32_sdwa v2, v26, v141 dst_sel:DWORD dst_unused:UNUSED_PAD src0_sel:DWORD src1_sel:WORD_0
	v_perm_b32 v3, v105, v104, 0x5040100
	v_add_f16_e32 v0, v0, v36
	v_add_f16_e32 v1, v1, v9
	v_pack_b32_f16 v0, v1, v0
	v_perm_b32 v1, v102, v101, 0x5040100
	ds_write2_b32 v2, v0, v3 offset1:10
	ds_write_b32 v2, v1 offset:80
.LBB0_11:
	s_or_b32 exec_lo, exec_lo, s1
	v_mul_lo_u16 v0, 0x89, v32
	v_and_b32_e32 v1, 0xff, v136
	s_waitcnt lgkmcnt(0)
	s_barrier
	buffer_gl0_inv
	v_lshrrev_b16 v27, 12, v0
	v_mul_lo_u16 v0, 0x89, v1
	v_add_nc_u32_e32 v37, 0x1400, v118
	v_add_nc_u32_e32 v34, 0x400, v118
	;; [unrolled: 1-line block ×3, first 2 shown]
	v_mul_lo_u16 v1, v27, 30
	v_lshrrev_b16 v33, 12, v0
	v_add_nc_u32_e32 v22, 0x1200, v118
	v_add_nc_u32_e32 v75, 0x1c00, v118
	ds_read2_b32 v[24:25], v118 offset1:90
	v_sub_nc_u16 v0, v100, v1
	v_mul_lo_u16 v1, v33, 30
	v_add_nc_u32_e32 v36, 0x800, v118
	v_add_nc_u32_e32 v79, 0x1000, v118
	;; [unrolled: 1-line block ×3, first 2 shown]
	v_and_b32_e32 v32, 0xff, v0
	v_sub_nc_u16 v0, v136, v1
	v_add_nc_u32_e32 v76, 0x1e00, v118
	v_add_nc_u32_e32 v84, 0xa00, v118
	;; [unrolled: 1-line block ×3, first 2 shown]
	v_lshlrev_b32_e32 v1, 4, v32
	v_and_b32_e32 v80, 0xff, v0
	global_load_dwordx4 v[8:11], v1, s[2:3] offset:80
	v_lshlrev_b32_e32 v0, 4, v80
	s_waitcnt lgkmcnt(0)
	v_lshrrev_b32_e32 v91, 16, v25
	v_lshrrev_b32_e32 v92, 16, v24
	global_load_dwordx4 v[16:19], v0, s[2:3] offset:80
	v_mov_b32_e32 v1, 0x8889
	v_mul_u32_u24_sdwa v0, v99, v1 dst_sel:DWORD dst_unused:UNUSED_PAD src0_sel:WORD_0 src1_sel:DWORD
	v_mul_u32_u24_sdwa v2, v28, v1 dst_sel:DWORD dst_unused:UNUSED_PAD src0_sel:WORD_0 src1_sel:DWORD
	v_mul_u32_u24_sdwa v1, v30, v1 dst_sel:DWORD dst_unused:UNUSED_PAD src0_sel:WORD_0 src1_sel:DWORD
	v_lshrrev_b32_e32 v86, 20, v0
	v_lshrrev_b32_e32 v82, 20, v2
	;; [unrolled: 1-line block ×3, first 2 shown]
	v_mul_lo_u16 v0, v86, 30
	v_mul_lo_u16 v2, v82, 30
	;; [unrolled: 1-line block ×3, first 2 shown]
	v_sub_nc_u16 v87, v99, v0
	v_sub_nc_u16 v85, v28, v2
	;; [unrolled: 1-line block ×3, first 2 shown]
	v_lshlrev_b16 v0, 4, v87
	v_lshlrev_b16 v2, 4, v85
	;; [unrolled: 1-line block ×3, first 2 shown]
	v_and_b32_e32 v0, 0xffff, v0
	v_and_b32_e32 v2, 0xffff, v2
	v_add_co_u32 v0, s1, s2, v0
	v_add_co_ci_u32_e64 v1, null, s3, 0, s1
	v_add_co_u32 v2, s1, s2, v2
	v_add_co_ci_u32_e64 v3, null, s3, 0, s1
	global_load_dwordx4 v[12:15], v[0:1], off offset:80
	v_and_b32_e32 v0, 0xffff, v4
	global_load_dwordx4 v[4:7], v[2:3], off offset:80
	v_add_co_u32 v0, s1, s2, v0
	v_add_co_ci_u32_e64 v1, null, s3, 0, s1
	global_load_dwordx4 v[0:3], v[0:1], off offset:80
	ds_read_b32 v117, v118 offset:8640
	ds_read2_b32 v[20:21], v34 offset0:104 offset1:194
	ds_read2_b32 v[94:95], v35 offset0:132 offset1:222
	;; [unrolled: 1-line block ×11, first 2 shown]
	s_waitcnt vmcnt(0) lgkmcnt(0)
	s_barrier
	buffer_gl0_inv
	v_lshrrev_b32_e32 v161, 16, v117
	v_lshrrev_b32_e32 v98, 16, v21
	;; [unrolled: 1-line block ×23, first 2 shown]
	v_mul_f16_sdwa v178, v107, v8 dst_sel:DWORD dst_unused:UNUSED_PAD src0_sel:DWORD src1_sel:WORD_1
	v_mul_f16_sdwa v179, v111, v8 dst_sel:DWORD dst_unused:UNUSED_PAD src0_sel:DWORD src1_sel:WORD_1
	;; [unrolled: 1-line block ×12, first 2 shown]
	v_fma_f16 v111, v111, v8, -v178
	v_fmac_f16_e32 v179, v107, v8
	v_fma_f16 v95, v95, v9, -v180
	v_fma_f16 v113, v113, v10, -v182
	;; [unrolled: 1-line block ×3, first 2 shown]
	v_mul_f16_sdwa v188, v94, v17 dst_sel:DWORD dst_unused:UNUSED_PAD src0_sel:DWORD src1_sel:WORD_1
	v_mul_f16_sdwa v110, v109, v18 dst_sel:DWORD dst_unused:UNUSED_PAD src0_sel:DWORD src1_sel:WORD_1
	;; [unrolled: 1-line block ×4, first 2 shown]
	v_fmac_f16_e32 v181, v164, v9
	v_fmac_f16_e32 v183, v165, v10
	;; [unrolled: 1-line block ×3, first 2 shown]
	v_fma_f16 v164, v21, v16, -v185
	v_fmac_f16_e32 v186, v98, v16
	v_fma_f16 v165, v94, v17, -v187
	v_fma_f16 v166, v109, v18, -v189
	v_add_f16_e32 v94, v25, v111
	v_add_f16_e32 v109, v95, v113
	v_sub_f16_e32 v178, v111, v95
	v_sub_f16_e32 v180, v107, v113
	v_add_f16_e32 v182, v111, v107
	v_sub_f16_e32 v184, v95, v111
	v_sub_f16_e32 v185, v113, v107
	v_add_f16_e32 v187, v91, v179
	v_fmac_f16_e32 v188, v103, v17
	v_fmac_f16_e32 v110, v162, v18
	v_fma_f16 v21, v96, v19, -v190
	v_fmac_f16_e32 v93, v163, v19
	v_sub_f16_e32 v162, v179, v106
	v_sub_f16_e32 v163, v181, v183
	v_add_f16_e32 v189, v181, v183
	v_sub_f16_e32 v190, v111, v107
	v_sub_f16_e32 v111, v179, v181
	v_add_f16_e32 v193, v179, v106
	v_sub_f16_e32 v179, v181, v179
	v_add_f16_e32 v224, v92, v186
	v_add_f16_e32 v231, v94, v95
	v_fma_f16 v94, -0.5, v109, v25
	v_mul_f16_sdwa v195, v167, v12 dst_sel:DWORD dst_unused:UNUSED_PAD src0_sel:DWORD src1_sel:WORD_1
	v_mul_f16_sdwa v197, v168, v13 dst_sel:DWORD dst_unused:UNUSED_PAD src0_sel:DWORD src1_sel:WORD_1
	;; [unrolled: 1-line block ×10, first 2 shown]
	v_add_f16_e32 v178, v178, v180
	v_fmac_f16_e32 v25, -0.5, v182
	v_add_f16_e32 v180, v184, v185
	v_mul_f16_sdwa v96, v158, v0 dst_sel:DWORD dst_unused:UNUSED_PAD src0_sel:DWORD src1_sel:WORD_1
	v_mul_f16_sdwa v97, v108, v1 dst_sel:DWORD dst_unused:UNUSED_PAD src0_sel:DWORD src1_sel:WORD_1
	v_add_f16_e32 v181, v187, v181
	v_fma_f16 v184, v112, v12, -v195
	v_fma_f16 v115, v115, v13, -v197
	;; [unrolled: 1-line block ×3, first 2 shown]
	v_mul_f16_sdwa v201, v170, v15 dst_sel:DWORD dst_unused:UNUSED_PAD src0_sel:DWORD src1_sel:WORD_1
	v_mul_f16_sdwa v205, v172, v5 dst_sel:DWORD dst_unused:UNUSED_PAD src0_sel:DWORD src1_sel:WORD_1
	;; [unrolled: 1-line block ×6, first 2 shown]
	v_fmac_f16_e32 v196, v167, v12
	v_fmac_f16_e32 v202, v170, v15
	v_fma_f16 v157, v157, v4, -v203
	v_fmac_f16_e32 v204, v171, v4
	v_fmac_f16_e32 v206, v172, v5
	;; [unrolled: 1-line block ×4, first 2 shown]
	v_add_f16_e32 v167, v224, v188
	v_fmamk_f16 v171, v163, 0xbb9c, v25
	v_fmac_f16_e32 v25, 0x3b9c, v163
	v_add_f16_e32 v172, v181, v183
	v_add_f16_e32 v175, v22, v184
	;; [unrolled: 1-line block ×3, first 2 shown]
	v_sub_f16_e32 v191, v95, v113
	v_sub_f16_e32 v192, v106, v183
	;; [unrolled: 1-line block ×3, first 2 shown]
	v_mul_f16_sdwa v208, v159, v6 dst_sel:DWORD dst_unused:UNUSED_PAD src0_sel:DWORD src1_sel:WORD_1
	v_mul_f16_sdwa v209, v174, v7 dst_sel:DWORD dst_unused:UNUSED_PAD src0_sel:DWORD src1_sel:WORD_1
	;; [unrolled: 1-line block ×4, first 2 shown]
	v_add_f16_e32 v215, v24, v164
	v_add_f16_e32 v216, v165, v166
	v_sub_f16_e32 v217, v186, v93
	v_sub_f16_e32 v218, v188, v110
	;; [unrolled: 1-line block ×4, first 2 shown]
	v_add_f16_e32 v221, v164, v21
	v_add_f16_e32 v225, v188, v110
	v_sub_f16_e32 v227, v186, v188
	v_sub_f16_e32 v228, v93, v110
	v_add_f16_e32 v229, v186, v93
	v_sub_f16_e32 v186, v188, v186
	v_sub_f16_e32 v230, v110, v93
	v_fma_f16 v95, -0.5, v189, v91
	v_fmac_f16_e32 v91, -0.5, v193
	v_fmac_f16_e32 v198, v168, v13
	v_fmac_f16_e32 v200, v169, v14
	v_fma_f16 v155, v155, v15, -v201
	v_fma_f16 v116, v116, v5, -v205
	;; [unrolled: 1-line block ×3, first 2 shown]
	v_fmac_f16_e32 v98, v177, v2
	v_fmamk_f16 v170, v162, 0x3b9c, v94
	v_fmac_f16_e32 v94, 0xbb9c, v162
	v_sub_f16_e32 v177, v196, v202
	v_sub_f16_e32 v183, v184, v115
	v_sub_f16_e32 v187, v115, v184
	v_sub_f16_e32 v193, v115, v114
	v_add_f16_e32 v201, v23, v157
	v_add_f16_e32 v110, v167, v110
	v_fmac_f16_e32 v171, 0x38b4, v162
	v_fmac_f16_e32 v25, 0xb8b4, v162
	v_add_f16_e32 v162, v172, v106
	v_add_f16_e32 v106, v175, v115
	v_fma_f16 v115, -0.5, v176, v22
	v_mul_f16_sdwa v210, v156, v7 dst_sel:DWORD dst_unused:UNUSED_PAD src0_sel:DWORD src1_sel:WORD_1
	v_mul_f16_sdwa v214, v161, v3 dst_sel:DWORD dst_unused:UNUSED_PAD src0_sel:DWORD src1_sel:WORD_1
	v_sub_f16_e32 v226, v165, v166
	v_add_f16_e32 v182, v111, v192
	v_fma_f16 v156, v156, v7, -v209
	v_fma_f16 v111, v108, v1, -v212
	;; [unrolled: 1-line block ×3, first 2 shown]
	v_fmac_f16_e32 v103, v161, v3
	v_add_f16_e32 v160, v215, v165
	v_fma_f16 v108, -0.5, v216, v24
	v_add_f16_e32 v161, v219, v220
	v_fma_f16 v109, -0.5, v221, v24
	v_fma_f16 v24, -0.5, v225, v92
	v_fmac_f16_e32 v92, -0.5, v229
	v_add_f16_e32 v169, v186, v230
	v_add_f16_e32 v113, v231, v113
	v_sub_f16_e32 v181, v198, v200
	v_sub_f16_e32 v185, v155, v114
	v_add_f16_e32 v186, v184, v155
	v_sub_f16_e32 v188, v114, v155
	v_add_f16_e32 v192, v198, v200
	v_add_f16_e32 v203, v116, v159
	v_sub_f16_e32 v209, v157, v116
	v_sub_f16_e32 v213, v116, v157
	v_add_f16_e32 v215, v89, v204
	v_sub_f16_e32 v219, v116, v159
	v_add_f16_e32 v116, v201, v116
	v_add_f16_e32 v93, v110, v93
	v_fmamk_f16 v110, v177, 0x3b9c, v115
	v_fmac_f16_e32 v115, 0xbb9c, v177
	v_sub_f16_e32 v222, v165, v164
	v_sub_f16_e32 v223, v166, v21
	;; [unrolled: 1-line block ×3, first 2 shown]
	v_fmac_f16_e32 v208, v173, v6
	v_fmac_f16_e32 v210, v174, v7
	v_sub_f16_e32 v184, v184, v155
	v_add_f16_e32 v160, v160, v166
	v_fmamk_f16 v166, v217, 0x3b9c, v108
	v_fmac_f16_e32 v108, 0xbb9c, v217
	v_fmamk_f16 v224, v226, 0x3b9c, v92
	v_fmac_f16_e32 v92, 0xbb9c, v226
	v_add_f16_e32 v113, v113, v107
	v_fmac_f16_e32 v170, 0x38b4, v163
	v_fmac_f16_e32 v94, 0xb8b4, v163
	v_add_f16_e32 v107, v183, v185
	v_fma_f16 v22, -0.5, v186, v22
	v_add_f16_e32 v163, v187, v188
	v_fma_f16 v175, -0.5, v192, v90
	v_add_f16_e32 v188, v215, v206
	v_add_f16_e32 v106, v106, v114
	;; [unrolled: 1-line block ×3, first 2 shown]
	v_fmac_f16_e32 v110, 0x38b4, v181
	v_fmac_f16_e32 v115, 0xb8b4, v181
	v_add_f16_e32 v179, v179, v194
	v_fma_f16 v158, v158, v0, -v211
	v_fma_f16 v117, v117, v3, -v214
	v_add_f16_e32 v165, v222, v223
	v_add_f16_e32 v189, v90, v196
	v_sub_f16_e32 v194, v196, v198
	v_sub_f16_e32 v195, v202, v200
	;; [unrolled: 1-line block ×3, first 2 shown]
	v_add_f16_e32 v212, v157, v156
	v_sub_f16_e32 v214, v159, v156
	v_add_f16_e32 v216, v206, v208
	v_sub_f16_e32 v157, v157, v156
	v_add_f16_e32 v222, v204, v210
	v_fmamk_f16 v223, v218, 0xbb9c, v109
	v_fmac_f16_e32 v109, 0x3b9c, v218
	v_fmamk_f16 v167, v164, 0xbb9c, v24
	v_fmac_f16_e32 v24, 0x3b9c, v164
	v_fmac_f16_e32 v166, 0x38b4, v218
	;; [unrolled: 1-line block ×5, first 2 shown]
	v_fmamk_f16 v114, v181, 0xbb9c, v22
	v_fmac_f16_e32 v22, 0x3b9c, v181
	v_fmamk_f16 v164, v184, 0xbb9c, v175
	v_fmac_f16_e32 v175, 0x3b9c, v184
	v_add_f16_e32 v159, v188, v208
	v_add_f16_e32 v155, v106, v155
	;; [unrolled: 1-line block ×3, first 2 shown]
	v_fmac_f16_e32 v110, 0x34f2, v107
	v_fmac_f16_e32 v115, 0x34f2, v107
	v_sub_f16_e32 v106, v206, v204
	v_sub_f16_e32 v107, v208, v210
	v_add_f16_e32 v156, v111, v112
	v_add_f16_e32 v168, v227, v228
	;; [unrolled: 1-line block ×4, first 2 shown]
	v_fma_f16 v189, -0.5, v216, v89
	v_fmac_f16_e32 v89, -0.5, v222
	v_fmac_f16_e32 v223, 0x38b4, v217
	v_fmac_f16_e32 v109, 0xb8b4, v217
	;; [unrolled: 1-line block ×10, first 2 shown]
	v_add_f16_e32 v161, v159, v210
	v_add_f16_e32 v107, v106, v107
	;; [unrolled: 1-line block ×3, first 2 shown]
	v_fma_f16 v106, -0.5, v156, v20
	v_sub_f16_e32 v156, v96, v103
	v_add_f16_e32 v177, v158, v117
	v_fmac_f16_e32 v223, 0x34f2, v165
	v_fmac_f16_e32 v109, 0x34f2, v165
	;; [unrolled: 1-line block ×10, first 2 shown]
	v_fmamk_f16 v163, v219, 0x3b9c, v89
	v_fmac_f16_e32 v89, 0xbb9c, v219
	v_add_f16_e32 v159, v159, v111
	v_fmamk_f16 v165, v156, 0x3b9c, v106
	v_sub_f16_e32 v168, v97, v98
	v_sub_f16_e32 v169, v158, v111
	;; [unrolled: 1-line block ×3, first 2 shown]
	v_fmac_f16_e32 v20, -0.5, v177
	v_fmac_f16_e32 v106, 0xbb9c, v156
	v_add_f16_e32 v177, v88, v96
	v_fmac_f16_e32 v171, 0x34f2, v180
	v_fmac_f16_e32 v25, 0x34f2, v180
	v_fmamk_f16 v180, v157, 0xbb9c, v189
	v_fmac_f16_e32 v189, 0x3b9c, v157
	v_fmac_f16_e32 v163, 0xb8b4, v157
	;; [unrolled: 1-line block ×3, first 2 shown]
	v_add_f16_e32 v157, v159, v112
	v_fmac_f16_e32 v165, 0x38b4, v168
	v_add_f16_e32 v159, v169, v176
	v_fmamk_f16 v176, v168, 0xbb9c, v20
	v_fmac_f16_e32 v106, 0xb8b4, v168
	v_fmac_f16_e32 v20, 0x3b9c, v168
	v_add_f16_e32 v168, v177, v97
	v_add_f16_e32 v197, v196, v202
	v_fmac_f16_e32 v163, 0x34f2, v107
	v_fmac_f16_e32 v89, 0x34f2, v107
	v_add_f16_e32 v169, v157, v117
	v_fmac_f16_e32 v165, 0x34f2, v159
	v_sub_f16_e32 v107, v111, v158
	v_sub_f16_e32 v157, v112, v117
	v_add_f16_e32 v181, v97, v98
	v_fmac_f16_e32 v176, 0x38b4, v156
	v_sub_f16_e32 v117, v158, v117
	v_fmac_f16_e32 v106, 0x34f2, v159
	v_fmac_f16_e32 v20, 0xb8b4, v156
	v_add_f16_e32 v156, v168, v98
	v_add_f16_e32 v158, v96, v103
	v_sub_f16_e32 v111, v111, v112
	v_sub_f16_e32 v112, v96, v97
	;; [unrolled: 1-line block ×5, first 2 shown]
	v_mov_b32_e32 v98, 0x96
	v_fmamk_f16 v173, v190, 0xbb9c, v95
	v_fmamk_f16 v174, v191, 0x3b9c, v91
	v_fmac_f16_e32 v91, 0xbb9c, v191
	v_fmac_f16_e32 v90, -0.5, v197
	v_fmac_f16_e32 v95, 0x3b9c, v190
	v_sub_f16_e32 v205, v204, v210
	v_fma_f16 v185, -0.5, v203, v23
	v_add_f16_e32 v21, v160, v21
	v_mul_u32_u24_sdwa v33, v33, v98 dst_sel:DWORD dst_unused:UNUSED_PAD src0_sel:WORD_0 src1_sel:DWORD
	v_fmac_f16_e32 v173, 0xb8b4, v191
	v_sub_f16_e32 v196, v198, v196
	v_sub_f16_e32 v199, v200, v202
	v_fmac_f16_e32 v174, 0xb8b4, v190
	v_fmac_f16_e32 v91, 0x38b4, v190
	v_add_f16_e32 v160, v172, v200
	v_fmamk_f16 v172, v193, 0x3b9c, v90
	v_fmac_f16_e32 v90, 0xbb9c, v193
	v_fmac_f16_e32 v95, 0x38b4, v191
	v_sub_f16_e32 v207, v206, v208
	v_fmac_f16_e32 v23, -0.5, v212
	v_sub_f16_e32 v220, v204, v206
	v_sub_f16_e32 v221, v210, v208
	v_fmac_f16_e32 v170, 0x34f2, v178
	v_fmac_f16_e32 v94, 0x34f2, v178
	v_fmamk_f16 v178, v205, 0x3b9c, v185
	v_add_f16_e32 v177, v156, v103
	v_add_lshl_u32 v156, v33, v80, 2
	v_pack_b32_f16 v21, v21, v93
	v_pack_b32_f16 v33, v166, v167
	v_fmac_f16_e32 v173, 0x34f2, v182
	v_add_f16_e32 v157, v107, v157
	v_fma_f16 v107, -0.5, v181, v88
	v_pack_b32_f16 v80, v223, v224
	v_pack_b32_f16 v92, v109, v92
	v_mul_u32_u24_sdwa v27, v27, v98 dst_sel:DWORD dst_unused:UNUSED_PAD src0_sel:WORD_0 src1_sel:DWORD
	v_add_f16_e32 v183, v196, v199
	v_fmac_f16_e32 v174, 0x34f2, v179
	v_fmac_f16_e32 v91, 0x34f2, v179
	;; [unrolled: 1-line block ×4, first 2 shown]
	v_fmac_f16_e32 v88, -0.5, v158
	v_fmac_f16_e32 v95, 0x34f2, v182
	v_fmamk_f16 v179, v207, 0xbb9c, v23
	v_fmac_f16_e32 v23, 0x3b9c, v207
	v_add_f16_e32 v186, v209, v211
	v_add_f16_e32 v190, v220, v221
	v_fmac_f16_e32 v185, 0xbb9c, v205
	v_fmac_f16_e32 v178, 0x38b4, v207
	;; [unrolled: 1-line block ×3, first 2 shown]
	ds_write2_b32 v156, v21, v33 offset1:30
	ds_write2_b32 v156, v80, v92 offset0:60 offset1:90
	v_pack_b32_f16 v21, v108, v24
	v_add_f16_e32 v160, v160, v202
	v_fmac_f16_e32 v176, 0x34f2, v157
	v_fmamk_f16 v168, v117, 0xbb9c, v107
	v_fmac_f16_e32 v20, 0x34f2, v157
	v_add_lshl_u32 v157, v27, v32, 2
	v_pack_b32_f16 v24, v113, v162
	v_pack_b32_f16 v27, v170, v173
	v_mad_u16 v80, 0x96, v86, v87
	v_fmac_f16_e32 v172, 0x34f2, v183
	v_fmac_f16_e32 v90, 0x34f2, v183
	v_fmamk_f16 v181, v111, 0x3b9c, v88
	v_fmac_f16_e32 v88, 0xbb9c, v111
	v_pack_b32_f16 v32, v171, v174
	v_pack_b32_f16 v25, v25, v91
	v_fmac_f16_e32 v107, 0x3b9c, v117
	v_pack_b32_f16 v33, v94, v95
	v_add_f16_e32 v187, v213, v214
	v_fmac_f16_e32 v179, 0x38b4, v205
	v_fmac_f16_e32 v23, 0xb8b4, v205
	;; [unrolled: 1-line block ×6, first 2 shown]
	ds_write_b32 v156, v21 offset:480
	ds_write2_b32 v157, v24, v27 offset1:30
	ds_write2_b32 v157, v32, v25 offset0:60 offset1:90
	ds_write_b32 v157, v33 offset:480
	v_mad_u16 v24, 0x96, v82, v85
	v_fmac_f16_e32 v168, 0xb8b4, v111
	v_add_f16_e32 v112, v112, v159
	v_lshlrev_b32_sdwa v159, v26, v80 dst_sel:DWORD dst_unused:UNUSED_PAD src0_sel:DWORD src1_sel:WORD_0
	v_pack_b32_f16 v21, v155, v160
	v_pack_b32_f16 v25, v110, v164
	v_fmac_f16_e32 v181, 0xb8b4, v117
	v_add_f16_e32 v96, v96, v97
	v_fmac_f16_e32 v88, 0x38b4, v117
	v_pack_b32_f16 v27, v114, v172
	v_pack_b32_f16 v22, v22, v90
	v_fmac_f16_e32 v107, 0x38b4, v111
	v_pack_b32_f16 v32, v115, v175
	v_fmac_f16_e32 v179, 0x34f2, v187
	v_fmac_f16_e32 v23, 0x34f2, v187
	;; [unrolled: 1-line block ×4, first 2 shown]
	v_lshlrev_b32_sdwa v158, v26, v24 dst_sel:DWORD dst_unused:UNUSED_PAD src0_sel:DWORD src1_sel:WORD_0
	v_pack_b32_f16 v24, v116, v161
	v_pack_b32_f16 v33, v178, v180
	v_fmac_f16_e32 v168, 0x34f2, v112
	ds_write2_b32 v159, v21, v25 offset1:30
	ds_write2_b32 v159, v27, v22 offset0:60 offset1:90
	ds_write_b32 v159, v32 offset:480
	v_mad_u16 v21, 0x96, v38, v81
	v_fmac_f16_e32 v181, 0x34f2, v96
	v_fmac_f16_e32 v88, 0x34f2, v96
	;; [unrolled: 1-line block ×3, first 2 shown]
	v_pack_b32_f16 v22, v179, v163
	v_pack_b32_f16 v23, v23, v89
	ds_write2_b32 v158, v24, v33 offset1:30
	v_pack_b32_f16 v24, v185, v189
	v_lshlrev_b32_sdwa v160, v26, v21 dst_sel:DWORD dst_unused:UNUSED_PAD src0_sel:DWORD src1_sel:WORD_0
	v_pack_b32_f16 v21, v169, v177
	v_pack_b32_f16 v25, v165, v168
	;; [unrolled: 1-line block ×5, first 2 shown]
	ds_write2_b32 v158, v22, v23 offset0:60 offset1:90
	ds_write_b32 v158, v24 offset:480
	ds_write2_b32 v160, v21, v25 offset1:30
	ds_write2_b32 v160, v26, v20 offset0:60 offset1:90
	ds_write_b32 v160, v27 offset:480
	v_add_nc_u32_e32 v20, 0x1600, v118
	s_waitcnt lgkmcnt(0)
	s_barrier
	buffer_gl0_inv
	ds_read2_b32 v[26:27], v118 offset1:90
	ds_read2_b32 v[97:98], v84 offset0:110 offset1:200
	ds_read2_b32 v[95:96], v20 offset0:92 offset1:182
	;; [unrolled: 1-line block ×11, first 2 shown]
	s_and_saveexec_b32 s1, s0
	s_cbranch_execz .LBB0_13
; %bb.12:
	ds_read_b32 v106, v118 offset:2880
	ds_read_b32 v104, v118 offset:5880
	;; [unrolled: 1-line block ×3, first 2 shown]
	s_waitcnt lgkmcnt(2)
	v_lshrrev_b32_e32 v107, 16, v106
	s_waitcnt lgkmcnt(1)
	v_lshrrev_b32_e32 v105, 16, v104
	;; [unrolled: 2-line block ×3, first 2 shown]
.LBB0_13:
	s_or_b32 exec_lo, exec_lo, s1
	v_lshrrev_b16 v75, 1, v28
	v_mov_b32_e32 v83, 0xda75
	v_add_co_u32 v76, s1, 0xffffffc4, v136
	v_lshrrev_b16 v80, 1, v30
	v_add_co_ci_u32_e64 v79, null, 0, -1, s1
	v_mul_u32_u24_sdwa v75, v75, v83 dst_sel:DWORD dst_unused:UNUSED_PAD src0_sel:WORD_0 src1_sel:DWORD
	v_cmp_gt_u16_e64 s1, 60, v136
	v_lshrrev_b16 v81, 1, v74
	v_lshrrev_b16 v82, 1, v73
	v_lshlrev_b32_e32 v84, 3, v136
	v_lshrrev_b32_e32 v112, 22, v75
	v_cndmask_b32_e64 v110, v79, v51, s1
	v_cndmask_b32_e64 v109, v76, v100, s1
	v_mul_u32_u24_sdwa v87, v81, v83 dst_sel:DWORD dst_unused:UNUSED_PAD src0_sel:WORD_0 src1_sel:DWORD
	v_mul_u32_u24_sdwa v88, v82, v83 dst_sel:DWORD dst_unused:UNUSED_PAD src0_sel:WORD_0 src1_sel:DWORD
	v_mul_lo_u16 v75, 0x96, v112
	v_lshrrev_b16 v89, 1, v77
	global_load_dwordx2 v[85:86], v84, s[2:3] offset:560
	v_lshrrev_b32_e32 v90, 22, v87
	v_lshrrev_b32_e32 v114, 22, v88
	v_sub_nc_u16 v113, v28, v75
	v_mul_u32_u24_sdwa v75, v80, v83 dst_sel:DWORD dst_unused:UNUSED_PAD src0_sel:WORD_0 src1_sel:DWORD
	s_waitcnt lgkmcnt(9)
	v_lshrrev_b32_e32 v167, 16, v95
	v_lshrrev_b32_e32 v169, 16, v98
	;; [unrolled: 1-line block ×3, first 2 shown]
	v_lshlrev_b16 v80, 3, v113
	v_lshrrev_b32_e32 v51, 22, v75
	v_lshlrev_b64 v[75:76], 3, v[109:110]
	v_lshrrev_b32_e32 v168, 16, v27
	s_waitcnt lgkmcnt(7)
	v_lshrrev_b32_e32 v172, 16, v38
	v_and_b32_e32 v79, 0xffff, v80
	v_mul_lo_u16 v51, 0x96, v51
	s_waitcnt lgkmcnt(6)
	v_lshrrev_b32_e32 v173, 16, v93
	v_lshrrev_b32_e32 v175, 16, v39
	;; [unrolled: 1-line block ×3, first 2 shown]
	v_add_co_u32 v79, s1, s2, v79
	v_add_co_ci_u32_e64 v80, null, s3, 0, s1
	v_add_co_u32 v81, s1, s2, v75
	v_add_co_ci_u32_e64 v82, s1, s3, v76, s1
	s_clause 0x2
	global_load_dwordx2 v[75:76], v[79:80], off offset:560
	global_load_dwordx2 v[87:88], v[81:82], off offset:560
	global_load_dwordx2 v[81:82], v84, s[2:3] offset:800
	v_mul_lo_u16 v79, 0x96, v90
	v_mul_lo_u16 v80, 0x96, v114
	v_mul_u32_u24_sdwa v84, v89, v83 dst_sel:DWORD dst_unused:UNUSED_PAD src0_sel:WORD_0 src1_sel:DWORD
	v_lshrrev_b16 v89, 1, v78
	v_sub_nc_u16 v51, v30, v51
	v_sub_nc_u16 v115, v74, v79
	v_sub_nc_u16 v116, v73, v80
	v_lshrrev_b32_e32 v73, 22, v84
	v_mul_u32_u24_sdwa v74, v89, v83 dst_sel:DWORD dst_unused:UNUSED_PAD src0_sel:WORD_0 src1_sel:DWORD
	v_lshlrev_b16 v90, 3, v51
	v_lshlrev_b16 v80, 3, v115
	;; [unrolled: 1-line block ×3, first 2 shown]
	v_mul_lo_u16 v84, 0x96, v73
	v_lshrrev_b32_e32 v89, 22, v74
	v_and_b32_e32 v79, 0xffff, v90
	s_waitcnt lgkmcnt(4)
	v_lshrrev_b32_e32 v178, 16, v34
	v_and_b32_e32 v83, 0xffff, v83
	v_sub_nc_u16 v117, v77, v84
	v_mul_lo_u16 v77, 0x96, v89
	v_add_co_u32 v73, s1, s2, v79
	v_and_b32_e32 v79, 0xffff, v80
	v_add_co_ci_u32_e64 v74, null, s3, 0, s1
	v_sub_nc_u16 v155, v78, v77
	v_lshlrev_b16 v84, 3, v117
	v_add_co_u32 v79, s1, s2, v79
	v_add_co_ci_u32_e64 v80, null, s3, 0, s1
	v_add_co_u32 v77, s1, s2, v83
	v_lshlrev_b16 v103, 3, v155
	v_add_co_ci_u32_e64 v78, null, s3, 0, s1
	v_and_b32_e32 v108, 0xffff, v84
	s_clause 0x2
	global_load_dwordx2 v[89:90], v[73:74], off offset:560
	global_load_dwordx2 v[83:84], v[79:80], off offset:560
	;; [unrolled: 1-line block ×3, first 2 shown]
	v_and_b32_e32 v77, 0xffff, v103
	s_waitcnt lgkmcnt(3)
	v_lshrrev_b32_e32 v179, 16, v91
	v_lshrrev_b32_e32 v181, 16, v35
	v_add_co_u32 v73, s1, s2, v108
	v_add_co_ci_u32_e64 v74, null, s3, 0, s1
	v_add_co_u32 v110, s1, s2, v77
	v_add_co_ci_u32_e64 v111, null, s3, 0, s1
	s_clause 0x1
	global_load_dwordx2 v[77:78], v[73:74], off offset:560
	global_load_dwordx2 v[73:74], v[110:111], off offset:560
	v_cmp_lt_u16_e64 s1, 59, v136
	v_mov_b32_e32 v108, 2
	v_lshrrev_b32_e32 v111, 16, v97
	v_lshrrev_b32_e32 v110, 16, v26
	;; [unrolled: 1-line block ×3, first 2 shown]
	v_cndmask_b32_e64 v161, 0, 0x1c2, s1
	v_lshlrev_b32_sdwa v162, v108, v51 dst_sel:DWORD dst_unused:UNUSED_PAD src0_sel:DWORD src1_sel:WORD_0
	v_mad_u16 v51, 0x1c2, v114, v116
	v_lshlrev_b32_sdwa v163, v108, v117 dst_sel:DWORD dst_unused:UNUSED_PAD src0_sel:DWORD src1_sel:WORD_0
	s_waitcnt lgkmcnt(1)
	v_lshrrev_b32_e32 v184, 16, v32
	v_add_lshl_u32 v165, v109, v161, 2
	v_lshlrev_b32_sdwa v161, v108, v115 dst_sel:DWORD dst_unused:UNUSED_PAD src0_sel:DWORD src1_sel:WORD_0
	v_lshlrev_b32_sdwa v164, v108, v51 dst_sel:DWORD dst_unused:UNUSED_PAD src0_sel:DWORD src1_sel:WORD_0
	s_waitcnt lgkmcnt(0)
	v_lshrrev_b32_e32 v185, 16, v36
	v_lshrrev_b32_e32 v187, 16, v33
	;; [unrolled: 1-line block ×3, first 2 shown]
	s_waitcnt vmcnt(0)
	s_barrier
	buffer_gl0_inv
	v_lshrrev_b32_e32 v171, 16, v20
	v_lshrrev_b32_e32 v174, 16, v21
	;; [unrolled: 1-line block ×6, first 2 shown]
	v_mad_u16 v109, 0x1c2, v112, v113
	v_add_nc_u32_e32 v103, 0x600, v118
	v_add_nc_u32_e32 v112, 0x1400, v161
	;; [unrolled: 1-line block ×3, first 2 shown]
	v_lshlrev_b32_sdwa v166, v108, v109 dst_sel:DWORD dst_unused:UNUSED_PAD src0_sel:DWORD src1_sel:WORD_0
	v_add_nc_u32_e32 v109, 0xe00, v162
	v_mul_f16_sdwa v51, v111, v85 dst_sel:DWORD dst_unused:UNUSED_PAD src0_sel:DWORD src1_sel:WORD_1
	v_mul_f16_sdwa v114, v97, v85 dst_sel:DWORD dst_unused:UNUSED_PAD src0_sel:DWORD src1_sel:WORD_1
	;; [unrolled: 1-line block ×4, first 2 shown]
	v_fma_f16 v51, v97, v85, -v51
	v_fmac_f16_e32 v114, v111, v85
	v_fma_f16 v95, v95, v86, -v115
	v_fmac_f16_e32 v116, v167, v86
	v_add_f16_e32 v97, v26, v51
	v_add_f16_e32 v117, v110, v114
	;; [unrolled: 1-line block ×3, first 2 shown]
	v_sub_f16_e32 v115, v114, v116
	v_add_f16_e32 v114, v114, v116
	v_sub_f16_e32 v51, v51, v95
	v_add_f16_e32 v95, v97, v95
	v_fma_f16 v26, -0.5, v111, v26
	v_add_f16_e32 v97, v117, v116
	v_fmac_f16_e32 v110, -0.5, v114
	v_fmamk_f16 v167, v115, 0x3aee, v26
	v_fmac_f16_e32 v26, 0xbaee, v115
	v_fmamk_f16 v115, v51, 0xbaee, v110
	v_fmac_f16_e32 v110, 0x3aee, v51
	v_pack_b32_f16 v51, v95, v97
	v_mul_f16_sdwa v111, v169, v87 dst_sel:DWORD dst_unused:UNUSED_PAD src0_sel:DWORD src1_sel:WORD_1
	v_mul_f16_sdwa v114, v98, v87 dst_sel:DWORD dst_unused:UNUSED_PAD src0_sel:DWORD src1_sel:WORD_1
	v_mul_f16_sdwa v116, v170, v88 dst_sel:DWORD dst_unused:UNUSED_PAD src0_sel:DWORD src1_sel:WORD_1
	v_mul_f16_sdwa v117, v96, v88 dst_sel:DWORD dst_unused:UNUSED_PAD src0_sel:DWORD src1_sel:WORD_1
	v_pack_b32_f16 v97, v167, v115
	v_fma_f16 v95, v98, v87, -v111
	v_fmac_f16_e32 v114, v169, v87
	v_fma_f16 v96, v96, v88, -v116
	v_fmac_f16_e32 v117, v170, v88
	v_pack_b32_f16 v26, v26, v110
	v_add_f16_e32 v98, v27, v95
	v_add_f16_e32 v115, v168, v114
	;; [unrolled: 1-line block ×3, first 2 shown]
	v_sub_f16_e32 v111, v114, v117
	v_add_f16_e32 v114, v114, v117
	ds_write2_b32 v118, v51, v97 offset1:150
	ds_write_b32 v118, v26 offset:1200
	v_add_f16_e32 v51, v98, v96
	v_fmac_f16_e32 v27, -0.5, v110
	v_mul_f16_sdwa v97, v172, v81 dst_sel:DWORD dst_unused:UNUSED_PAD src0_sel:DWORD src1_sel:WORD_1
	v_fmac_f16_e32 v168, -0.5, v114
	v_mul_f16_sdwa v98, v38, v81 dst_sel:DWORD dst_unused:UNUSED_PAD src0_sel:DWORD src1_sel:WORD_1
	v_mul_f16_sdwa v110, v173, v82 dst_sel:DWORD dst_unused:UNUSED_PAD src0_sel:DWORD src1_sel:WORD_1
	;; [unrolled: 1-line block ×3, first 2 shown]
	v_sub_f16_e32 v116, v95, v96
	v_add_f16_e32 v96, v115, v117
	v_mul_f16_sdwa v115, v175, v75 dst_sel:DWORD dst_unused:UNUSED_PAD src0_sel:DWORD src1_sel:WORD_1
	v_mul_f16_sdwa v117, v39, v75 dst_sel:DWORD dst_unused:UNUSED_PAD src0_sel:DWORD src1_sel:WORD_1
	;; [unrolled: 1-line block ×4, first 2 shown]
	v_fma_f16 v38, v38, v81, -v97
	v_fmac_f16_e32 v98, v172, v81
	v_fma_f16 v93, v93, v82, -v110
	v_fmac_f16_e32 v114, v173, v82
	;; [unrolled: 2-line block ×3, first 2 shown]
	v_fma_f16 v94, v94, v76, -v167
	v_mul_f16_sdwa v170, v178, v89 dst_sel:DWORD dst_unused:UNUSED_PAD src0_sel:DWORD src1_sel:WORD_1
	v_mul_f16_sdwa v189, v34, v89 dst_sel:DWORD dst_unused:UNUSED_PAD src0_sel:DWORD src1_sel:WORD_1
	;; [unrolled: 1-line block ×12, first 2 shown]
	v_fmac_f16_e32 v169, v176, v76
	v_fma_f16 v34, v34, v89, -v170
	v_fmac_f16_e32 v189, v178, v89
	v_mul_f16_sdwa v200, v187, v77 dst_sel:DWORD dst_unused:UNUSED_PAD src0_sel:DWORD src1_sel:WORD_1
	v_mul_f16_sdwa v201, v33, v77 dst_sel:DWORD dst_unused:UNUSED_PAD src0_sel:DWORD src1_sel:WORD_1
	;; [unrolled: 1-line block ×8, first 2 shown]
	v_fma_f16 v91, v91, v90, -v190
	v_fmac_f16_e32 v191, v179, v90
	v_fmamk_f16 v206, v111, 0x3aee, v27
	v_fmac_f16_e32 v27, 0xbaee, v111
	v_fmamk_f16 v111, v116, 0xbaee, v168
	v_pack_b32_f16 v51, v51, v96
	v_fma_f16 v35, v35, v83, -v192
	v_fmac_f16_e32 v193, v181, v83
	v_fma_f16 v92, v92, v84, -v194
	v_fmac_f16_e32 v195, v182, v84
	;; [unrolled: 2-line block ×8, first 2 shown]
	v_add_f16_e32 v104, v38, v93
	v_sub_f16_e32 v105, v98, v114
	v_add_f16_e32 v110, v171, v98
	v_add_f16_e32 v98, v98, v114
	v_fmac_f16_e32 v168, 0x3aee, v116
	v_add_f16_e32 v115, v39, v94
	v_sub_f16_e32 v116, v117, v169
	v_add_f16_e32 v167, v174, v117
	v_add_f16_e32 v117, v117, v169
	v_add_f16_e32 v170, v34, v91
	v_add_f16_e32 v175, v189, v191
	v_pack_b32_f16 v101, v206, v111
	v_add_f16_e32 v102, v20, v38
	v_sub_f16_e32 v38, v38, v93
	v_sub_f16_e32 v172, v189, v191
	v_add_f16_e32 v173, v177, v189
	v_add_f16_e32 v178, v35, v92
	;; [unrolled: 1-line block ×4, first 2 shown]
	v_sub_f16_e32 v187, v197, v199
	v_add_f16_e32 v188, v183, v197
	v_add_f16_e32 v189, v197, v199
	;; [unrolled: 1-line block ×6, first 2 shown]
	v_fma_f16 v20, -0.5, v104, v20
	v_fmac_f16_e32 v171, -0.5, v98
	v_pack_b32_f16 v27, v27, v168
	v_add_f16_e32 v111, v21, v39
	v_sub_f16_e32 v39, v39, v94
	v_fmac_f16_e32 v21, -0.5, v115
	v_fmac_f16_e32 v174, -0.5, v117
	v_add_f16_e32 v168, v22, v34
	v_sub_f16_e32 v34, v34, v91
	v_fma_f16 v22, -0.5, v170, v22
	v_fmac_f16_e32 v177, -0.5, v175
	v_add_f16_e32 v176, v23, v35
	v_sub_f16_e32 v179, v193, v195
	v_add_f16_e32 v181, v180, v193
	v_sub_f16_e32 v35, v35, v92
	;; [unrolled: 2-line block ×5, first 2 shown]
	v_sub_f16_e32 v198, v95, v26
	v_sub_f16_e32 v201, v33, v32
	ds_write2_b32 v165, v51, v101 offset1:150
	ds_write_b32 v165, v27 offset:1200
	v_add_f16_e32 v27, v102, v93
	v_add_f16_e32 v93, v110, v114
	;; [unrolled: 1-line block ×3, first 2 shown]
	v_fmac_f16_e32 v23, -0.5, v178
	v_fmac_f16_e32 v180, -0.5, v182
	v_fma_f16 v24, -0.5, v185, v24
	v_fmac_f16_e32 v183, -0.5, v189
	v_fmac_f16_e32 v25, -0.5, v192
	v_fmac_f16_e32 v186, -0.5, v196
	v_fma_f16 v51, -0.5, v197, v106
	v_fma_f16 v167, -0.5, v200, v107
	v_fmamk_f16 v114, v105, 0x3aee, v20
	v_fmac_f16_e32 v20, 0xbaee, v105
	v_fmamk_f16 v105, v38, 0xbaee, v171
	v_fmac_f16_e32 v171, 0x3aee, v38
	v_add_f16_e32 v94, v111, v94
	v_fmamk_f16 v38, v116, 0x3aee, v21
	v_fmamk_f16 v115, v39, 0xbaee, v174
	v_fmac_f16_e32 v21, 0xbaee, v116
	v_fmac_f16_e32 v174, 0x3aee, v39
	v_add_f16_e32 v91, v168, v91
	v_add_f16_e32 v101, v173, v191
	v_fmamk_f16 v39, v172, 0x3aee, v22
	v_fmamk_f16 v116, v34, 0xbaee, v177
	v_add_f16_e32 v102, v176, v92
	v_add_f16_e32 v104, v181, v195
	;; [unrolled: 1-line block ×6, first 2 shown]
	v_fmac_f16_e32 v22, 0xbaee, v172
	v_fmac_f16_e32 v177, 0x3aee, v34
	v_fmamk_f16 v34, v179, 0x3aee, v23
	v_fmac_f16_e32 v23, 0xbaee, v179
	v_fmamk_f16 v117, v35, 0xbaee, v180
	;; [unrolled: 2-line block ×8, first 2 shown]
	v_fmac_f16_e32 v167, 0x3aee, v201
	v_pack_b32_f16 v27, v27, v93
	v_pack_b32_f16 v97, v114, v105
	;; [unrolled: 1-line block ×18, first 2 shown]
	ds_write2_b32 v103, v27, v97 offset0:96 offset1:246
	ds_write_b32 v118, v20 offset:3120
	ds_write2_b32 v166, v93, v38 offset1:150
	ds_write_b32 v166, v21 offset:1200
	ds_write2_b32 v109, v91, v39 offset0:4 offset1:154
	ds_write_b32 v162, v22 offset:4800
	ds_write2_b32 v112, v94, v34 offset0:70 offset1:220
	ds_write_b32 v161, v23 offset:6600
	ds_write2_b32 v164, v36, v35 offset1:150
	ds_write_b32 v164, v24 offset:1200
	ds_write2_b32 v113, v37, v96 offset0:8 offset1:158
	ds_write_b32 v163, v25 offset:8400
	s_and_saveexec_b32 s1, s0
	s_cbranch_execz .LBB0_15
; %bb.14:
	v_add_f16_e32 v20, v107, v95
	v_add_f16_e32 v21, v106, v33
	v_lshlrev_b32_sdwa v22, v108, v155 dst_sel:DWORD dst_unused:UNUSED_PAD src0_sel:DWORD src1_sel:WORD_0
	v_perm_b32 v23, v168, v92, 0x5040100
	v_add_f16_e32 v20, v20, v26
	v_add_f16_e32 v21, v21, v32
	v_add_nc_u32_e32 v24, 0x1c00, v22
	v_pack_b32_f16 v20, v21, v20
	v_perm_b32 v21, v167, v51, 0x5040100
	ds_write2_b32 v24, v20, v23 offset0:8 offset1:158
	ds_write_b32 v22, v21 offset:8400
.LBB0_15:
	s_or_b32 exec_lo, exec_lo, s1
	v_lshlrev_b32_e32 v20, 4, v136
	v_lshlrev_b32_e32 v21, 4, v100
	s_waitcnt lgkmcnt(0)
	s_barrier
	buffer_gl0_inv
	s_clause 0x1
	global_load_dwordx4 v[24:27], v20, s[2:3] offset:1760
	global_load_dwordx4 v[20:23], v21, s[2:3] offset:1760
	v_add_nc_u32_e32 v101, 0xc00, v118
	v_add_nc_u32_e32 v105, 0x1400, v118
	;; [unrolled: 1-line block ×4, first 2 shown]
	ds_read2_b32 v[32:33], v118 offset1:90
	ds_read2_b32 v[110:111], v101 offset0:132 offset1:222
	ds_read2_b32 v[169:170], v104 offset0:8 offset1:98
	;; [unrolled: 1-line block ×4, first 2 shown]
	v_lshlrev_b64 v[28:29], 4, v[28:29]
	v_lshlrev_b64 v[30:31], 4, v[30:31]
	v_add_nc_u32_e32 v107, 0x400, v118
	v_add_nc_u32_e32 v106, 0x1200, v118
	v_add_co_u32 v28, s1, s2, v28
	v_add_co_ci_u32_e64 v29, s1, s3, v29, s1
	v_add_co_u32 v36, s1, s2, v30
	ds_read2_b32 v[93:94], v107 offset0:104 offset1:194
	ds_read2_b32 v[95:96], v106 offset0:108 offset1:198
	v_add_co_ci_u32_e64 v37, s1, s3, v31, s1
	s_waitcnt lgkmcnt(5)
	v_lshrrev_b32_e32 v31, 16, v110
	s_waitcnt lgkmcnt(4)
	v_lshrrev_b32_e32 v34, 16, v169
	;; [unrolled: 2-line block ×3, first 2 shown]
	v_lshrrev_b32_e32 v117, 16, v111
	s_waitcnt lgkmcnt(2)
	v_lshrrev_b32_e32 v171, 16, v38
	v_lshrrev_b32_e32 v172, 16, v170
	;; [unrolled: 1-line block ×4, first 2 shown]
	s_waitcnt lgkmcnt(1)
	v_lshrrev_b32_e32 v173, 16, v94
	s_waitcnt vmcnt(1)
	v_mul_f16_sdwa v35, v110, v25 dst_sel:DWORD dst_unused:UNUSED_PAD src0_sel:DWORD src1_sel:WORD_1
	v_mul_f16_sdwa v108, v31, v25 dst_sel:DWORD dst_unused:UNUSED_PAD src0_sel:DWORD src1_sel:WORD_1
	;; [unrolled: 1-line block ×3, first 2 shown]
	s_waitcnt vmcnt(0)
	v_mul_f16_sdwa v116, v91, v20 dst_sel:DWORD dst_unused:UNUSED_PAD src0_sel:DWORD src1_sel:WORD_1
	v_mul_f16_sdwa v174, v117, v21 dst_sel:DWORD dst_unused:UNUSED_PAD src0_sel:DWORD src1_sel:WORD_1
	;; [unrolled: 1-line block ×5, first 2 shown]
	v_fmac_f16_e32 v35, v31, v25
	v_mul_f16_sdwa v31, v172, v23 dst_sel:DWORD dst_unused:UNUSED_PAD src0_sel:DWORD src1_sel:WORD_1
	v_mul_f16_sdwa v30, v169, v27 dst_sel:DWORD dst_unused:UNUSED_PAD src0_sel:DWORD src1_sel:WORD_1
	;; [unrolled: 1-line block ×4, first 2 shown]
	v_fma_f16 v110, v110, v25, -v108
	v_fma_f16 v108, v169, v27, -v115
	;; [unrolled: 1-line block ×4, first 2 shown]
	v_fmac_f16_e32 v112, v117, v21
	v_fma_f16 v117, v38, v22, -v175
	v_fma_f16 v169, v170, v23, -v31
	v_fmac_f16_e32 v113, v171, v22
	v_fmac_f16_e32 v100, v91, v20
	v_fmac_f16_e32 v114, v172, v23
	v_add_f16_e32 v38, v116, v117
	v_add_f16_e32 v91, v115, v169
	;; [unrolled: 1-line block ×5, first 2 shown]
	v_fma_f16 v38, -0.5, v38, v33
	v_fmac_f16_e32 v33, -0.5, v91
	v_fma_f16 v91, -0.5, v170, v109
	s_waitcnt lgkmcnt(0)
	v_lshrrev_b32_e32 v170, 16, v96
	v_mul_f16_sdwa v177, v96, v26 dst_sel:DWORD dst_unused:UNUSED_PAD src0_sel:DWORD src1_sel:WORD_1
	v_fmac_f16_e32 v30, v34, v27
	v_sub_f16_e32 v97, v116, v115
	v_sub_f16_e32 v111, v117, v169
	v_add_f16_e32 v34, v109, v100
	v_fmac_f16_e32 v109, -0.5, v171
	v_mul_f16_sdwa v171, v173, v24 dst_sel:DWORD dst_unused:UNUSED_PAD src0_sel:DWORD src1_sel:WORD_1
	v_fmac_f16_e32 v177, v170, v26
	v_mul_f16_sdwa v170, v170, v26 dst_sel:DWORD dst_unused:UNUSED_PAD src0_sel:DWORD src1_sel:WORD_1
	v_sub_f16_e32 v172, v112, v100
	v_add_f16_e32 v97, v97, v111
	v_sub_f16_e32 v111, v113, v114
	v_mul_f16_sdwa v176, v94, v24 dst_sel:DWORD dst_unused:UNUSED_PAD src0_sel:DWORD src1_sel:WORD_1
	v_fma_f16 v178, v94, v24, -v171
	v_fma_f16 v179, v96, v26, -v170
	v_sub_f16_e32 v171, v112, v113
	v_sub_f16_e32 v170, v116, v117
	v_add_f16_e32 v111, v172, v111
	v_fmac_f16_e32 v176, v173, v24
	v_sub_f16_e32 v173, v100, v114
	v_fmamk_f16 v94, v171, 0xbb9c, v33
	v_fmac_f16_e32 v33, 0x3b9c, v171
	v_fmamk_f16 v96, v170, 0x3b9c, v109
	v_fmac_f16_e32 v109, 0xbb9c, v170
	v_sub_f16_e32 v172, v115, v169
	v_add_f16_e32 v174, v110, v179
	v_fmac_f16_e32 v33, 0xb8b4, v173
	v_add_f16_e32 v175, v178, v108
	v_sub_f16_e32 v180, v108, v179
	v_fmac_f16_e32 v109, 0x38b4, v172
	v_fma_f16 v174, -0.5, v174, v32
	v_fmac_f16_e32 v33, 0x34f2, v97
	v_fma_f16 v175, -0.5, v175, v32
	v_sub_f16_e32 v181, v179, v108
	v_fmac_f16_e32 v109, 0x34f2, v111
	v_sub_f16_e32 v182, v30, v177
	v_add_f16_e32 v183, v176, v30
	v_sub_f16_e32 v186, v177, v30
	v_add_f16_e32 v31, v31, v116
	v_pack_b32_f16 v185, v33, v109
	v_sub_f16_e32 v109, v178, v110
	v_lshrrev_b32_e32 v33, 16, v32
	v_add_f16_e32 v32, v32, v178
	v_add_f16_e32 v31, v31, v117
	v_sub_f16_e32 v100, v100, v112
	v_add_f16_e32 v109, v109, v180
	v_sub_f16_e32 v180, v110, v178
	v_add_f16_e32 v184, v33, v176
	v_add_f16_e32 v32, v32, v110
	v_sub_f16_e32 v110, v110, v179
	v_sub_f16_e32 v178, v178, v108
	v_add_f16_e32 v180, v180, v181
	v_sub_f16_e32 v181, v176, v35
	v_add_f16_e32 v32, v32, v179
	v_add_f16_e32 v179, v184, v35
	;; [unrolled: 1-line block ×3, first 2 shown]
	v_fmac_f16_e32 v94, 0x38b4, v173
	v_add_f16_e32 v181, v181, v182
	v_add_f16_e32 v182, v35, v177
	;; [unrolled: 1-line block ×3, first 2 shown]
	v_sub_f16_e32 v108, v176, v30
	v_fmac_f16_e32 v96, 0xb8b4, v172
	v_fmac_f16_e32 v94, 0x34f2, v97
	v_fma_f16 v182, -0.5, v182, v33
	v_fmac_f16_e32 v33, -0.5, v183
	v_sub_f16_e32 v183, v35, v176
	v_sub_f16_e32 v35, v35, v177
	v_add_f16_e32 v177, v179, v177
	v_fmamk_f16 v176, v108, 0x3b9c, v174
	v_fmac_f16_e32 v174, 0xbb9c, v108
	v_add_f16_e32 v183, v183, v186
	v_fmamk_f16 v179, v35, 0xbb9c, v175
	v_add_f16_e32 v30, v177, v30
	v_fmac_f16_e32 v175, 0x3b9c, v35
	v_fmac_f16_e32 v176, 0x38b4, v35
	;; [unrolled: 1-line block ×3, first 2 shown]
	v_fmamk_f16 v35, v178, 0xbb9c, v182
	v_pack_b32_f16 v30, v32, v30
	v_add_f16_e32 v32, v34, v112
	v_fmac_f16_e32 v179, 0x38b4, v108
	v_fmac_f16_e32 v175, 0xb8b4, v108
	v_fmamk_f16 v108, v110, 0x3b9c, v33
	v_fmac_f16_e32 v33, 0xbb9c, v110
	v_fmac_f16_e32 v182, 0x3b9c, v178
	;; [unrolled: 1-line block ×3, first 2 shown]
	v_add_f16_e32 v32, v32, v113
	v_fmac_f16_e32 v108, 0xb8b4, v178
	v_fmac_f16_e32 v33, 0x38b4, v178
	;; [unrolled: 1-line block ×5, first 2 shown]
	v_add_f16_e32 v32, v32, v114
	v_fmac_f16_e32 v179, 0x34f2, v180
	v_fmac_f16_e32 v108, 0x34f2, v183
	;; [unrolled: 1-line block ×6, first 2 shown]
	v_pack_b32_f16 v31, v31, v32
	v_pack_b32_f16 v32, v176, v35
	v_add_nc_u32_e32 v110, 0x200, v118
	v_pack_b32_f16 v34, v179, v108
	v_pack_b32_f16 v33, v175, v33
	;; [unrolled: 1-line block ×3, first 2 shown]
	v_add_nc_u32_e32 v174, 0x1000, v118
	ds_read2_b32 v[175:176], v110 offset0:52 offset1:142
	ds_write_b32 v118, v32 offset:1800
	ds_write_b32 v118, v34 offset:3600
	;; [unrolled: 1-line block ×4, first 2 shown]
	v_add_nc_u32_e32 v108, 0x1e00, v118
	v_lshlrev_b32_e32 v32, 4, v99
	v_add_nc_u32_e32 v186, 0xa00, v118
	v_add_nc_u32_e32 v109, 0x1800, v118
	ds_read_b32 v187, v118 offset:8640
	ds_read2_b32 v[177:178], v174 offset0:56 offset1:146
	ds_read2_b32 v[179:180], v108 offset0:60 offset1:150
	;; [unrolled: 1-line block ×4, first 2 shown]
	ds_write2_b32 v118, v30, v31 offset1:90
	s_clause 0x1
	global_load_dwordx4 v[28:31], v[28:29], off offset:1760
	global_load_dwordx4 v[32:35], v32, s[2:3] offset:1760
	v_lshrrev_b32_e32 v99, 16, v98
	v_sub_f16_e32 v112, v114, v113
	v_fmac_f16_e32 v96, 0x34f2, v111
	v_pack_b32_f16 v94, v94, v96
	s_waitcnt lgkmcnt(10)
	v_lshrrev_b32_e32 v96, 16, v175
	v_lshrrev_b32_e32 v201, 16, v176
	s_waitcnt lgkmcnt(3)
	v_lshrrev_b32_e32 v113, 16, v179
	s_waitcnt lgkmcnt(1)
	v_lshrrev_b32_e32 v195, 16, v184
	s_waitcnt vmcnt(0)
	v_mul_f16_sdwa v188, v99, v32 dst_sel:DWORD dst_unused:UNUSED_PAD src0_sel:DWORD src1_sel:WORD_1
	v_mul_f16_sdwa v114, v179, v35 dst_sel:DWORD dst_unused:UNUSED_PAD src0_sel:DWORD src1_sel:WORD_1
	;; [unrolled: 1-line block ×4, first 2 shown]
	v_fma_f16 v188, v98, v32, -v188
	v_mul_f16_sdwa v98, v98, v32 dst_sel:DWORD dst_unused:UNUSED_PAD src0_sel:DWORD src1_sel:WORD_1
	v_fmac_f16_e32 v114, v113, v35
	v_mul_f16_sdwa v113, v113, v35 dst_sel:DWORD dst_unused:UNUSED_PAD src0_sel:DWORD src1_sel:WORD_1
	v_fma_f16 v190, v39, v34, -v190
	v_sub_f16_e32 v39, v115, v116
	v_fmac_f16_e32 v98, v99, v32
	v_add_f16_e32 v99, v100, v112
	v_lshrrev_b32_e32 v100, 16, v177
	v_mul_f16_sdwa v112, v177, v33 dst_sel:DWORD dst_unused:UNUSED_PAD src0_sel:DWORD src1_sel:WORD_1
	v_sub_f16_e32 v115, v169, v117
	v_fma_f16 v113, v179, v35, -v113
	v_fmamk_f16 v117, v172, 0xbb9c, v91
	v_fmac_f16_e32 v91, 0x3b9c, v172
	v_fmac_f16_e32 v112, v100, v33
	v_mul_f16_sdwa v100, v100, v33 dst_sel:DWORD dst_unused:UNUSED_PAD src0_sel:DWORD src1_sel:WORD_1
	v_add_f16_e32 v39, v39, v115
	v_sub_f16_e32 v116, v113, v190
	v_fmac_f16_e32 v91, 0x38b4, v170
	v_fmac_f16_e32 v191, v189, v34
	v_fma_f16 v100, v177, v33, -v100
	v_fmac_f16_e32 v117, 0xb8b4, v170
	v_lshrrev_b32_e32 v169, 16, v180
	v_fmac_f16_e32 v91, 0x34f2, v99
	v_sub_f16_e32 v97, v114, v191
	v_sub_f16_e32 v115, v188, v100
	v_fmac_f16_e32 v117, 0x34f2, v99
	v_sub_f16_e32 v172, v112, v191
	v_sub_f16_e32 v177, v100, v190
	v_lshrrev_b32_e32 v170, 16, v181
	v_add_f16_e32 v115, v115, v116
	v_fmamk_f16 v116, v173, 0x3b9c, v38
	v_fmac_f16_e32 v38, 0xbb9c, v173
	v_sub_f16_e32 v173, v188, v113
	v_mul_f16_sdwa v179, v180, v31 dst_sel:DWORD dst_unused:UNUSED_PAD src0_sel:DWORD src1_sel:WORD_1
	v_lshrrev_b32_e32 v189, 16, v95
	v_fmac_f16_e32 v116, 0x38b4, v171
	v_fmac_f16_e32 v38, 0xb8b4, v171
	v_lshrrev_b32_e32 v171, 16, v182
	v_fmac_f16_e32 v179, v169, v31
	v_fmac_f16_e32 v116, 0x34f2, v39
	;; [unrolled: 1-line block ×3, first 2 shown]
	v_sub_f16_e32 v39, v98, v112
	v_pack_b32_f16 v38, v38, v91
	v_add_f16_e32 v91, v100, v190
	v_add_f16_e32 v97, v39, v97
	v_pack_b32_f16 v39, v116, v117
	v_sub_f16_e32 v117, v98, v114
	v_fma_f16 v99, -0.5, v91, v175
	v_add_f16_e32 v91, v112, v191
	v_fma_f16 v116, -0.5, v91, v96
	v_fmamk_f16 v91, v117, 0x3b9c, v99
	v_fmac_f16_e32 v99, 0xbb9c, v117
	v_fmamk_f16 v111, v173, 0xbb9c, v116
	v_fmac_f16_e32 v91, 0x38b4, v172
	v_fmac_f16_e32 v116, 0x3b9c, v173
	;; [unrolled: 1-line block ×9, first 2 shown]
	v_pack_b32_f16 v91, v91, v111
	ds_write_b32 v118, v94 offset:3960
	ds_write_b32 v118, v185 offset:5760
	;; [unrolled: 1-line block ×3, first 2 shown]
	ds_write2_b32 v102, v39, v91 offset0:28 offset1:118
	v_lshrrev_b32_e32 v91, 16, v178
	v_mul_f16_sdwa v111, v178, v29 dst_sel:DWORD dst_unused:UNUSED_PAD src0_sel:DWORD src1_sel:WORD_1
	v_mul_f16_sdwa v38, v91, v29 dst_sel:DWORD dst_unused:UNUSED_PAD src0_sel:DWORD src1_sel:WORD_1
	v_fmac_f16_e32 v111, v91, v29
	v_lshrrev_b32_e32 v91, 16, v187
	v_fma_f16 v94, v178, v29, -v38
	v_mul_f16_sdwa v38, v169, v31 dst_sel:DWORD dst_unused:UNUSED_PAD src0_sel:DWORD src1_sel:WORD_1
	v_fma_f16 v178, v180, v31, -v38
	v_mul_f16_sdwa v38, v170, v28 dst_sel:DWORD dst_unused:UNUSED_PAD src0_sel:DWORD src1_sel:WORD_1
	v_fma_f16 v180, v181, v28, -v38
	global_load_dwordx4 v[36:39], v[36:37], off offset:1760
	v_mul_f16_sdwa v181, v181, v28 dst_sel:DWORD dst_unused:UNUSED_PAD src0_sel:DWORD src1_sel:WORD_1
	v_sub_f16_e32 v205, v180, v178
	v_fmac_f16_e32 v181, v170, v28
	v_lshrrev_b32_e32 v170, 16, v93
	v_sub_f16_e32 v203, v181, v179
	s_waitcnt vmcnt(0)
	v_mul_f16_sdwa v192, v189, v37 dst_sel:DWORD dst_unused:UNUSED_PAD src0_sel:DWORD src1_sel:WORD_1
	v_mul_f16_sdwa v193, v95, v37 dst_sel:DWORD dst_unused:UNUSED_PAD src0_sel:DWORD src1_sel:WORD_1
	;; [unrolled: 1-line block ×4, first 2 shown]
	v_fma_f16 v192, v95, v37, -v192
	v_lshrrev_b32_e32 v95, 16, v183
	v_fmac_f16_e32 v193, v189, v37
	v_fma_f16 v196, v184, v38, -v196
	v_mul_f16_sdwa v184, v184, v38 dst_sel:DWORD dst_unused:UNUSED_PAD src0_sel:DWORD src1_sel:WORD_1
	v_fma_f16 v185, v182, v36, -v185
	v_mul_f16_sdwa v194, v95, v30 dst_sel:DWORD dst_unused:UNUSED_PAD src0_sel:DWORD src1_sel:WORD_1
	v_mul_f16_sdwa v182, v182, v36 dst_sel:DWORD dst_unused:UNUSED_PAD src0_sel:DWORD src1_sel:WORD_1
	v_sub_f16_e32 v211, v192, v196
	v_fmac_f16_e32 v184, v195, v38
	v_sub_f16_e32 v97, v192, v185
	v_fma_f16 v194, v183, v30, -v194
	v_mul_f16_sdwa v183, v183, v30 dst_sel:DWORD dst_unused:UNUSED_PAD src0_sel:DWORD src1_sel:WORD_1
	v_fmac_f16_e32 v182, v171, v36
	v_sub_f16_e32 v209, v193, v184
	v_sub_f16_e32 v206, v94, v194
	v_fmac_f16_e32 v183, v95, v30
	v_mul_f16_sdwa v95, v91, v39 dst_sel:DWORD dst_unused:UNUSED_PAD src0_sel:DWORD src1_sel:WORD_1
	v_sub_f16_e32 v204, v111, v183
	v_fma_f16 v189, v187, v39, -v95
	v_mul_f16_sdwa v187, v187, v39 dst_sel:DWORD dst_unused:UNUSED_PAD src0_sel:DWORD src1_sel:WORD_1
	v_sub_f16_e32 v95, v178, v194
	v_sub_f16_e32 v169, v189, v196
	v_fmac_f16_e32 v187, v91, v39
	v_sub_f16_e32 v91, v180, v94
	v_sub_f16_e32 v210, v185, v189
	;; [unrolled: 1-line block ×3, first 2 shown]
	v_add_f16_e32 v195, v91, v95
	v_sub_f16_e32 v91, v181, v111
	v_sub_f16_e32 v95, v179, v183
	v_add_f16_e32 v197, v91, v95
	v_sub_f16_e32 v95, v185, v192
	v_add_f16_e32 v91, v192, v196
	v_add_f16_e32 v198, v95, v169
	v_sub_f16_e32 v95, v182, v193
	v_sub_f16_e32 v169, v187, v184
	v_fma_f16 v91, -0.5, v91, v93
	v_add_f16_e32 v199, v95, v169
	v_add_f16_e32 v95, v94, v194
	v_fma_f16 v200, -0.5, v95, v176
	v_add_f16_e32 v95, v111, v183
	v_fma_f16 v202, -0.5, v95, v201
	v_fmamk_f16 v95, v203, 0x3b9c, v200
	v_fmac_f16_e32 v200, 0xbb9c, v203
	v_fmamk_f16 v169, v205, 0xbb9c, v202
	v_fmac_f16_e32 v95, 0x38b4, v204
	v_fmac_f16_e32 v202, 0x3b9c, v205
	;; [unrolled: 1-line block ×9, first 2 shown]
	v_pack_b32_f16 v207, v95, v169
	v_add_f16_e32 v95, v193, v184
	v_fma_f16 v171, -0.5, v95, v170
	v_fmamk_f16 v95, v208, 0x3b9c, v91
	v_fmac_f16_e32 v91, 0xbb9c, v208
	v_fmamk_f16 v169, v210, 0xbb9c, v171
	v_fmac_f16_e32 v95, 0x38b4, v209
	v_fmac_f16_e32 v171, 0x3b9c, v210
	;; [unrolled: 1-line block ×9, first 2 shown]
	v_pack_b32_f16 v212, v95, v169
	ds_write2_b32 v186, v207, v212 offset0:80 offset1:170
	v_add_f16_e32 v186, v175, v188
	v_add_f16_e32 v207, v96, v98
	;; [unrolled: 1-line block ×6, first 2 shown]
	v_sub_f16_e32 v100, v100, v188
	v_sub_f16_e32 v112, v112, v98
	v_add_f16_e32 v186, v186, v190
	v_add_f16_e32 v207, v207, v191
	;; [unrolled: 1-line block ×4, first 2 shown]
	v_sub_f16_e32 v111, v111, v181
	v_add_f16_e32 v186, v186, v113
	v_add_f16_e32 v207, v207, v114
	;; [unrolled: 1-line block ×3, first 2 shown]
	v_fmac_f16_e32 v96, -0.5, v98
	v_add_f16_e32 v98, v180, v178
	v_sub_f16_e32 v114, v191, v114
	v_pack_b32_f16 v186, v186, v207
	v_add_f16_e32 v207, v176, v180
	v_fmac_f16_e32 v176, -0.5, v98
	v_add_f16_e32 v112, v112, v114
	v_fmamk_f16 v114, v177, 0x3b9c, v96
	v_add_f16_e32 v207, v207, v94
	v_sub_f16_e32 v94, v94, v180
	v_fmac_f16_e32 v96, 0xbb9c, v177
	v_fmac_f16_e32 v114, 0xb8b4, v173
	v_add_f16_e32 v207, v207, v194
	v_fmac_f16_e32 v96, 0x38b4, v173
	v_fmac_f16_e32 v114, 0x34f2, v112
	v_add_f16_e32 v207, v207, v178
	v_fmac_f16_e32 v96, 0x34f2, v112
	v_pack_b32_f16 v207, v207, v212
	ds_write2_b32 v110, v186, v207 offset0:52 offset1:142
	v_add_f16_e32 v186, v188, v113
	v_sub_f16_e32 v113, v190, v113
	v_add_f16_e32 v100, v100, v113
	v_sub_f16_e32 v113, v194, v178
	;; [unrolled: 2-line block ×3, first 2 shown]
	v_add_f16_e32 v94, v94, v113
	v_fmac_f16_e32 v201, -0.5, v178
	v_add_f16_e32 v98, v111, v179
	v_fma_f16 v111, -0.5, v186, v175
	v_fmamk_f16 v175, v206, 0x3b9c, v201
	v_fmac_f16_e32 v201, 0xbb9c, v206
	v_fmamk_f16 v113, v172, 0xbb9c, v111
	v_fmac_f16_e32 v111, 0x3b9c, v172
	v_fmac_f16_e32 v175, 0xb8b4, v205
	;; [unrolled: 1-line block ×9, first 2 shown]
	v_sub_f16_e32 v98, v196, v189
	v_sub_f16_e32 v100, v184, v187
	v_pack_b32_f16 v113, v113, v114
	v_fmamk_f16 v114, v204, 0xbb9c, v176
	v_fmac_f16_e32 v176, 0x3b9c, v204
	v_pack_b32_f16 v96, v111, v96
	v_add_nc_u32_e32 v111, 0x1600, v118
	v_add_f16_e32 v97, v97, v98
	v_fmac_f16_e32 v114, 0x38b4, v203
	v_fmac_f16_e32 v176, 0xb8b4, v203
	v_add_f16_e32 v98, v170, v182
	v_fmac_f16_e32 v114, 0x34f2, v94
	v_fmac_f16_e32 v176, 0x34f2, v94
	v_pack_b32_f16 v114, v114, v175
	v_pack_b32_f16 v94, v176, v201
	ds_write2_b32 v174, v113, v114 offset0:56 offset1:146
	ds_write2_b32 v111, v96, v94 offset0:122 offset1:212
	v_add_f16_e32 v96, v185, v189
	v_add_f16_e32 v94, v93, v185
	v_pack_b32_f16 v113, v91, v171
	v_fmac_f16_e32 v93, -0.5, v96
	v_add_f16_e32 v94, v94, v192
	v_fmamk_f16 v96, v209, 0xbb9c, v93
	v_fmac_f16_e32 v93, 0x3b9c, v209
	v_add_f16_e32 v94, v94, v196
	v_fmac_f16_e32 v96, 0x38b4, v208
	v_fmac_f16_e32 v93, 0xb8b4, v208
	v_add_f16_e32 v94, v94, v189
	v_fmac_f16_e32 v96, 0x34f2, v97
	v_fmac_f16_e32 v93, 0x34f2, v97
	v_add_f16_e32 v97, v182, v187
	v_fmac_f16_e32 v170, -0.5, v97
	v_add_f16_e32 v97, v98, v193
	v_sub_f16_e32 v98, v193, v182
	v_fmamk_f16 v173, v211, 0x3b9c, v170
	v_fmac_f16_e32 v170, 0xbb9c, v211
	v_add_f16_e32 v97, v97, v184
	v_add_f16_e32 v98, v98, v100
	v_fmac_f16_e32 v173, 0xb8b4, v210
	v_fmac_f16_e32 v170, 0x38b4, v210
	v_add_f16_e32 v172, v97, v187
	v_pack_b32_f16 v97, v99, v116
	v_fmac_f16_e32 v173, 0x34f2, v98
	v_fmac_f16_e32 v170, 0x34f2, v98
	v_pack_b32_f16 v98, v200, v202
	v_pack_b32_f16 v99, v94, v172
	;; [unrolled: 1-line block ×4, first 2 shown]
	ds_write2_b32 v108, v97, v98 offset0:60 offset1:150
	ds_write_b32 v118, v99 offset:1440
	ds_write_b32 v118, v100 offset:5040
	;; [unrolled: 1-line block ×4, first 2 shown]
	s_waitcnt lgkmcnt(0)
	s_barrier
	buffer_gl0_inv
	global_load_dword v99, v[42:43], off offset:808
	ds_read2_b32 v[97:98], v118 offset1:90
	v_add_co_u32 v112, s1, 0x4000, v48
	v_add_co_ci_u32_e64 v113, s1, 0, v49, s1
	global_load_dword v180, v[112:113], off offset:1076
	s_waitcnt lgkmcnt(0)
	v_lshrrev_b32_e32 v100, 16, v97
	s_waitcnt vmcnt(1)
	v_mul_f16_sdwa v114, v97, v99 dst_sel:DWORD dst_unused:UNUSED_PAD src0_sel:DWORD src1_sel:WORD_1
	v_mul_f16_sdwa v115, v100, v99 dst_sel:DWORD dst_unused:UNUSED_PAD src0_sel:DWORD src1_sel:WORD_1
	v_fmac_f16_e32 v114, v100, v99
	v_fma_f16 v97, v97, v99, -v115
	v_add_co_u32 v99, s1, 0x2328, v48
	v_add_co_ci_u32_e64 v100, s1, 0, v49, s1
	v_pack_b32_f16 v97, v97, v114
	v_add_co_u32 v114, s1, 0x2800, v48
	v_add_co_ci_u32_e64 v115, s1, 0, v49, s1
	ds_write_b32 v118, v97
	s_clause 0x2
	global_load_dword v97, v[99:100], off offset:1800
	global_load_dword v181, v[114:115], off offset:920
	;; [unrolled: 1-line block ×3, first 2 shown]
	ds_read2_b32 v[116:117], v103 offset0:66 offset1:156
	ds_read2_b32 v[175:176], v110 offset0:97 offset1:187
	s_waitcnt lgkmcnt(1)
	v_lshrrev_b32_e32 v103, 16, v116
	s_waitcnt vmcnt(2)
	v_mul_f16_sdwa v178, v116, v97 dst_sel:DWORD dst_unused:UNUSED_PAD src0_sel:DWORD src1_sel:WORD_1
	s_waitcnt vmcnt(0) lgkmcnt(0)
	v_mul_f16_sdwa v179, v176, v177 dst_sel:DWORD dst_unused:UNUSED_PAD src0_sel:DWORD src1_sel:WORD_1
	v_fmac_f16_e32 v178, v103, v97
	v_mul_f16_sdwa v103, v103, v97 dst_sel:DWORD dst_unused:UNUSED_PAD src0_sel:DWORD src1_sel:WORD_1
	v_fma_f16 v97, v116, v97, -v103
	v_lshrrev_b32_e32 v116, 16, v176
	global_load_dword v103, v[99:100], off offset:900
	v_pack_b32_f16 v97, v97, v178
	v_fmac_f16_e32 v179, v116, v177
	v_mul_f16_sdwa v116, v116, v177 dst_sel:DWORD dst_unused:UNUSED_PAD src0_sel:DWORD src1_sel:WORD_1
	v_fma_f16 v116, v176, v177, -v116
	v_pack_b32_f16 v116, v116, v179
	ds_write2_b32 v107, v116, v97 offset0:59 offset1:194
	s_clause 0x1
	global_load_dword v97, v[114:115], off offset:1820
	global_load_dword v116, v[114:115], off offset:1460
	v_add_co_u32 v114, s1, 0x3000, v48
	v_add_co_ci_u32_e64 v115, s1, 0, v49, s1
	ds_read2_b32 v[176:177], v101 offset0:132 offset1:222
	global_load_dword v107, v[114:115], off offset:312
	s_waitcnt lgkmcnt(0)
	v_lshrrev_b32_e32 v178, 16, v176
	s_waitcnt vmcnt(0)
	v_mul_f16_sdwa v182, v176, v107 dst_sel:DWORD dst_unused:UNUSED_PAD src0_sel:DWORD src1_sel:WORD_1
	v_fmac_f16_e32 v182, v178, v107
	v_mul_f16_sdwa v178, v178, v107 dst_sel:DWORD dst_unused:UNUSED_PAD src0_sel:DWORD src1_sel:WORD_1
	v_fma_f16 v107, v176, v107, -v178
	ds_read2_b32 v[178:179], v102 offset0:163 offset1:253
	v_pack_b32_f16 v107, v107, v182
	s_waitcnt lgkmcnt(0)
	v_lshrrev_b32_e32 v176, 16, v179
	v_mul_f16_sdwa v183, v179, v97 dst_sel:DWORD dst_unused:UNUSED_PAD src0_sel:DWORD src1_sel:WORD_1
	v_fmac_f16_e32 v183, v176, v97
	v_mul_f16_sdwa v176, v176, v97 dst_sel:DWORD dst_unused:UNUSED_PAD src0_sel:DWORD src1_sel:WORD_1
	v_fma_f16 v97, v179, v97, -v176
	v_add_nc_u32_e32 v176, 0xb00, v118
	v_pack_b32_f16 v97, v97, v183
	ds_write2_b32 v176, v97, v107 offset0:61 offset1:196
	s_clause 0x2
	global_load_dword v97, v[114:115], off offset:672
	global_load_dword v107, v[114:115], off offset:1212
	;; [unrolled: 1-line block ×3, first 2 shown]
	v_add_co_u32 v114, s1, 0x3800, v48
	v_add_co_ci_u32_e64 v115, s1, 0, v49, s1
	s_clause 0x4
	global_load_dword v179, v[114:115], off offset:64
	global_load_dword v182, v[114:115], off offset:424
	;; [unrolled: 1-line block ×5, first 2 shown]
	v_lshrrev_b32_e32 v114, 16, v177
	s_waitcnt vmcnt(7)
	v_mul_f16_sdwa v115, v114, v97 dst_sel:DWORD dst_unused:UNUSED_PAD src0_sel:DWORD src1_sel:WORD_1
	v_fma_f16 v186, v177, v97, -v115
	v_mul_f16_sdwa v177, v177, v97 dst_sel:DWORD dst_unused:UNUSED_PAD src0_sel:DWORD src1_sel:WORD_1
	v_fmac_f16_e32 v177, v114, v97
	ds_read2_b32 v[114:115], v174 offset0:101 offset1:191
	s_waitcnt lgkmcnt(0)
	v_lshrrev_b32_e32 v97, 16, v114
	s_waitcnt vmcnt(6)
	v_mul_f16_sdwa v187, v114, v107 dst_sel:DWORD dst_unused:UNUSED_PAD src0_sel:DWORD src1_sel:WORD_1
	v_fmac_f16_e32 v187, v97, v107
	v_mul_f16_sdwa v97, v97, v107 dst_sel:DWORD dst_unused:UNUSED_PAD src0_sel:DWORD src1_sel:WORD_1
	v_fma_f16 v97, v114, v107, -v97
	v_pack_b32_f16 v107, v186, v177
	v_add_nc_u32_e32 v114, 0xe00, v118
	s_waitcnt vmcnt(5)
	v_mul_f16_sdwa v177, v115, v176 dst_sel:DWORD dst_unused:UNUSED_PAD src0_sel:DWORD src1_sel:WORD_1
	v_pack_b32_f16 v97, v97, v187
	ds_write2_b32 v114, v107, v97 offset0:94 offset1:229
	v_lshrrev_b32_e32 v97, 16, v115
	v_mul_f16_sdwa v107, v97, v176 dst_sel:DWORD dst_unused:UNUSED_PAD src0_sel:DWORD src1_sel:WORD_1
	v_fmac_f16_e32 v177, v97, v176
	v_fma_f16 v107, v115, v176, -v107
	ds_read2_b32 v[114:115], v105 offset0:70 offset1:160
	v_pack_b32_f16 v107, v107, v177
	s_waitcnt lgkmcnt(0)
	v_lshrrev_b32_e32 v97, 16, v114
	s_waitcnt vmcnt(4)
	v_mul_f16_sdwa v176, v114, v179 dst_sel:DWORD dst_unused:UNUSED_PAD src0_sel:DWORD src1_sel:WORD_1
	v_fmac_f16_e32 v176, v97, v179
	v_mul_f16_sdwa v97, v97, v179 dst_sel:DWORD dst_unused:UNUSED_PAD src0_sel:DWORD src1_sel:WORD_1
	v_fma_f16 v97, v114, v179, -v97
	v_pack_b32_f16 v97, v97, v176
	ds_write2_b32 v106, v107, v97 offset0:63 offset1:198
	v_lshrrev_b32_e32 v97, 16, v115
	s_waitcnt vmcnt(3)
	v_mul_f16_sdwa v106, v97, v182 dst_sel:DWORD dst_unused:UNUSED_PAD src0_sel:DWORD src1_sel:WORD_1
	v_fma_f16 v114, v115, v182, -v106
	ds_read2_b32 v[106:107], v109 offset0:39 offset1:129
	v_mul_f16_sdwa v115, v115, v182 dst_sel:DWORD dst_unused:UNUSED_PAD src0_sel:DWORD src1_sel:WORD_1
	v_fmac_f16_e32 v115, v97, v182
	s_waitcnt lgkmcnt(0)
	v_lshrrev_b32_e32 v97, 16, v106
	s_waitcnt vmcnt(2)
	v_mul_f16_sdwa v176, v106, v183 dst_sel:DWORD dst_unused:UNUSED_PAD src0_sel:DWORD src1_sel:WORD_1
	v_fmac_f16_e32 v176, v97, v183
	v_mul_f16_sdwa v97, v97, v183 dst_sel:DWORD dst_unused:UNUSED_PAD src0_sel:DWORD src1_sel:WORD_1
	v_fma_f16 v97, v106, v183, -v97
	v_pack_b32_f16 v106, v114, v115
	v_pack_b32_f16 v97, v97, v176
	v_mul_f16_sdwa v176, v178, v116 dst_sel:DWORD dst_unused:UNUSED_PAD src0_sel:DWORD src1_sel:WORD_1
	ds_write2_b32 v111, v106, v97 offset0:32 offset1:167
	s_clause 0x2
	global_load_dword v97, v[99:100], off offset:360
	global_load_dword v177, v[112:113], off offset:176
	;; [unrolled: 1-line block ×3, first 2 shown]
	v_lshrrev_b32_e32 v106, 16, v98
	s_waitcnt vmcnt(2)
	v_mul_f16_sdwa v111, v106, v97 dst_sel:DWORD dst_unused:UNUSED_PAD src0_sel:DWORD src1_sel:WORD_1
	v_mul_f16_sdwa v114, v98, v97 dst_sel:DWORD dst_unused:UNUSED_PAD src0_sel:DWORD src1_sel:WORD_1
	v_fma_f16 v111, v98, v97, -v111
	v_fmac_f16_e32 v114, v106, v97
	v_lshrrev_b32_e32 v97, 16, v107
	v_pack_b32_f16 v111, v111, v114
	v_mul_f16_sdwa v98, v97, v184 dst_sel:DWORD dst_unused:UNUSED_PAD src0_sel:DWORD src1_sel:WORD_1
	v_fma_f16 v106, v107, v184, -v98
	v_mul_f16_sdwa v107, v107, v184 dst_sel:DWORD dst_unused:UNUSED_PAD src0_sel:DWORD src1_sel:WORD_1
	v_fmac_f16_e32 v107, v97, v184
	v_lshrrev_b32_e32 v97, 16, v175
	v_pack_b32_f16 v106, v106, v107
	v_mul_f16_sdwa v98, v97, v103 dst_sel:DWORD dst_unused:UNUSED_PAD src0_sel:DWORD src1_sel:WORD_1
	v_fma_f16 v115, v175, v103, -v98
	v_mul_f16_sdwa v175, v175, v103 dst_sel:DWORD dst_unused:UNUSED_PAD src0_sel:DWORD src1_sel:WORD_1
	v_fmac_f16_e32 v175, v97, v103
	v_lshrrev_b32_e32 v97, 16, v178
	v_pack_b32_f16 v107, v115, v175
	v_mul_f16_sdwa v98, v97, v116 dst_sel:DWORD dst_unused:UNUSED_PAD src0_sel:DWORD src1_sel:WORD_1
	v_fmac_f16_e32 v176, v97, v116
	v_lshrrev_b32_e32 v97, 16, v117
	v_add_nc_u32_e32 v115, 0x1a00, v118
	v_fma_f16 v103, v178, v116, -v98
	v_mul_f16_sdwa v98, v97, v181 dst_sel:DWORD dst_unused:UNUSED_PAD src0_sel:DWORD src1_sel:WORD_1
	v_pack_b32_f16 v103, v103, v176
	v_fma_f16 v116, v117, v181, -v98
	v_mul_f16_sdwa v117, v117, v181 dst_sel:DWORD dst_unused:UNUSED_PAD src0_sel:DWORD src1_sel:WORD_1
	v_fmac_f16_e32 v117, v97, v181
	ds_read2_b32 v[97:98], v104 offset0:8 offset1:98
	s_waitcnt lgkmcnt(0)
	v_lshrrev_b32_e32 v113, 16, v97
	v_mul_f16_sdwa v178, v97, v185 dst_sel:DWORD dst_unused:UNUSED_PAD src0_sel:DWORD src1_sel:WORD_1
	s_waitcnt vmcnt(1)
	v_mul_f16_sdwa v181, v98, v177 dst_sel:DWORD dst_unused:UNUSED_PAD src0_sel:DWORD src1_sel:WORD_1
	v_fmac_f16_e32 v178, v113, v185
	v_mul_f16_sdwa v113, v113, v185 dst_sel:DWORD dst_unused:UNUSED_PAD src0_sel:DWORD src1_sel:WORD_1
	v_fma_f16 v113, v97, v185, -v113
	v_lshrrev_b32_e32 v97, 16, v98
	v_mul_f16_sdwa v179, v97, v177 dst_sel:DWORD dst_unused:UNUSED_PAD src0_sel:DWORD src1_sel:WORD_1
	v_fmac_f16_e32 v181, v97, v177
	v_fma_f16 v179, v98, v177, -v179
	ds_read2_b32 v[97:98], v108 offset0:105 offset1:195
	v_pack_b32_f16 v114, v179, v181
	s_waitcnt lgkmcnt(0)
	v_lshrrev_b32_e32 v177, 16, v97
	s_waitcnt vmcnt(0)
	v_mul_f16_sdwa v182, v97, v112 dst_sel:DWORD dst_unused:UNUSED_PAD src0_sel:DWORD src1_sel:WORD_1
	v_fmac_f16_e32 v182, v177, v112
	v_mul_f16_sdwa v177, v177, v112 dst_sel:DWORD dst_unused:UNUSED_PAD src0_sel:DWORD src1_sel:WORD_1
	v_fma_f16 v97, v97, v112, -v177
	v_lshrrev_b32_e32 v112, 16, v98
	v_pack_b32_f16 v97, v97, v182
	v_mul_f16_sdwa v177, v112, v180 dst_sel:DWORD dst_unused:UNUSED_PAD src0_sel:DWORD src1_sel:WORD_1
	v_fma_f16 v177, v98, v180, -v177
	v_mul_f16_sdwa v98, v98, v180 dst_sel:DWORD dst_unused:UNUSED_PAD src0_sel:DWORD src1_sel:WORD_1
	v_fmac_f16_e32 v98, v112, v180
	v_pack_b32_f16 v112, v113, v178
	v_pack_b32_f16 v113, v116, v117
	;; [unrolled: 1-line block ×3, first 2 shown]
	ds_write2_b32 v115, v106, v112 offset0:1 offset1:136
	ds_write2_b32 v118, v111, v107 offset0:90 offset1:225
	;; [unrolled: 1-line block ×4, first 2 shown]
	ds_write_b32 v118, v98 offset:8460
	s_and_saveexec_b32 s2, vcc_lo
	s_cbranch_execz .LBB0_17
; %bb.16:
	s_clause 0x1
	global_load_dword v103, v[99:100], off offset:720
	global_load_dword v111, v[99:100], off offset:1620
	v_add_co_u32 v97, s1, 0x800, v99
	v_add_co_ci_u32_e64 v98, s1, 0, v100, s1
	s_clause 0x1
	global_load_dword v112, v[97:98], off offset:472
	global_load_dword v113, v[97:98], off offset:1372
	v_add_co_u32 v97, s1, 0x1000, v99
	v_add_co_ci_u32_e64 v98, s1, 0, v100, s1
	v_add_co_u32 v106, s1, 0x1800, v99
	v_add_co_ci_u32_e64 v107, s1, 0, v100, s1
	s_clause 0x2
	global_load_dword v114, v[97:98], off offset:224
	global_load_dword v115, v[97:98], off offset:1124
	;; [unrolled: 1-line block ×3, first 2 shown]
	v_add_co_u32 v97, s1, 0x2000, v99
	v_add_co_ci_u32_e64 v98, s1, 0, v100, s1
	s_clause 0x2
	global_load_dword v117, v[106:107], off offset:876
	global_load_dword v175, v[106:107], off offset:1776
	;; [unrolled: 1-line block ×3, first 2 shown]
	v_add_nc_u32_e32 v99, 0x280, v118
	ds_read2_b32 v[97:98], v99 offset0:20 offset1:245
	s_waitcnt lgkmcnt(0)
	v_lshrrev_b32_e32 v100, 16, v97
	v_lshrrev_b32_e32 v106, 16, v98
	s_waitcnt vmcnt(9)
	v_mul_f16_sdwa v107, v100, v103 dst_sel:DWORD dst_unused:UNUSED_PAD src0_sel:DWORD src1_sel:WORD_1
	v_mul_f16_sdwa v177, v97, v103 dst_sel:DWORD dst_unused:UNUSED_PAD src0_sel:DWORD src1_sel:WORD_1
	s_waitcnt vmcnt(8)
	v_mul_f16_sdwa v178, v106, v111 dst_sel:DWORD dst_unused:UNUSED_PAD src0_sel:DWORD src1_sel:WORD_1
	v_mul_f16_sdwa v179, v98, v111 dst_sel:DWORD dst_unused:UNUSED_PAD src0_sel:DWORD src1_sel:WORD_1
	v_fma_f16 v97, v97, v103, -v107
	v_fmac_f16_e32 v177, v100, v103
	v_fma_f16 v98, v98, v111, -v178
	v_fmac_f16_e32 v179, v106, v111
	v_add_nc_u32_e32 v100, 0x980, v118
	v_pack_b32_f16 v97, v97, v177
	v_pack_b32_f16 v98, v98, v179
	ds_write2_b32 v99, v97, v98 offset0:20 offset1:245
	ds_read2_b32 v[97:98], v100 offset0:22 offset1:247
	s_waitcnt lgkmcnt(0)
	v_lshrrev_b32_e32 v99, 16, v97
	v_lshrrev_b32_e32 v103, 16, v98
	s_waitcnt vmcnt(7)
	v_mul_f16_sdwa v106, v97, v112 dst_sel:DWORD dst_unused:UNUSED_PAD src0_sel:DWORD src1_sel:WORD_1
	s_waitcnt vmcnt(6)
	v_mul_f16_sdwa v107, v98, v113 dst_sel:DWORD dst_unused:UNUSED_PAD src0_sel:DWORD src1_sel:WORD_1
	v_mul_f16_sdwa v111, v99, v112 dst_sel:DWORD dst_unused:UNUSED_PAD src0_sel:DWORD src1_sel:WORD_1
	;; [unrolled: 1-line block ×3, first 2 shown]
	v_fmac_f16_e32 v106, v99, v112
	v_fmac_f16_e32 v107, v103, v113
	v_add_nc_u32_e32 v103, 0x1080, v118
	v_fma_f16 v97, v97, v112, -v111
	v_fma_f16 v98, v98, v113, -v177
	v_add_nc_u32_e32 v111, 0x1780, v118
	v_add_nc_u32_e32 v112, 0x1e80, v118
	v_pack_b32_f16 v97, v97, v106
	v_pack_b32_f16 v98, v98, v107
	ds_write2_b32 v100, v97, v98 offset0:22 offset1:247
	ds_read2_b32 v[97:98], v103 offset0:24 offset1:249
	ds_read2_b32 v[99:100], v111 offset0:26 offset1:251
	;; [unrolled: 1-line block ×3, first 2 shown]
	s_waitcnt lgkmcnt(1)
	v_lshrrev_b32_e32 v180, 16, v99
	v_lshrrev_b32_e32 v113, 16, v97
	s_waitcnt vmcnt(5)
	v_mul_f16_sdwa v177, v97, v114 dst_sel:DWORD dst_unused:UNUSED_PAD src0_sel:DWORD src1_sel:WORD_1
	v_lshrrev_b32_e32 v178, 16, v98
	s_waitcnt vmcnt(4)
	v_mul_f16_sdwa v179, v98, v115 dst_sel:DWORD dst_unused:UNUSED_PAD src0_sel:DWORD src1_sel:WORD_1
	s_waitcnt vmcnt(3)
	v_mul_f16_sdwa v181, v99, v116 dst_sel:DWORD dst_unused:UNUSED_PAD src0_sel:DWORD src1_sel:WORD_1
	v_lshrrev_b32_e32 v182, 16, v100
	s_waitcnt vmcnt(2)
	v_mul_f16_sdwa v183, v100, v117 dst_sel:DWORD dst_unused:UNUSED_PAD src0_sel:DWORD src1_sel:WORD_1
	s_waitcnt lgkmcnt(0)
	v_lshrrev_b32_e32 v184, 16, v106
	s_waitcnt vmcnt(1)
	v_mul_f16_sdwa v185, v106, v175 dst_sel:DWORD dst_unused:UNUSED_PAD src0_sel:DWORD src1_sel:WORD_1
	v_lshrrev_b32_e32 v186, 16, v107
	v_mul_f16_sdwa v188, v113, v114 dst_sel:DWORD dst_unused:UNUSED_PAD src0_sel:DWORD src1_sel:WORD_1
	v_fmac_f16_e32 v177, v113, v114
	v_mul_f16_sdwa v113, v178, v115 dst_sel:DWORD dst_unused:UNUSED_PAD src0_sel:DWORD src1_sel:WORD_1
	v_fmac_f16_e32 v179, v178, v115
	;; [unrolled: 2-line block ×3, first 2 shown]
	v_mul_f16_sdwa v180, v182, v117 dst_sel:DWORD dst_unused:UNUSED_PAD src0_sel:DWORD src1_sel:WORD_1
	s_waitcnt vmcnt(0)
	v_mul_f16_sdwa v187, v107, v176 dst_sel:DWORD dst_unused:UNUSED_PAD src0_sel:DWORD src1_sel:WORD_1
	v_fmac_f16_e32 v183, v182, v117
	v_mul_f16_sdwa v182, v184, v175 dst_sel:DWORD dst_unused:UNUSED_PAD src0_sel:DWORD src1_sel:WORD_1
	v_fmac_f16_e32 v185, v184, v175
	v_mul_f16_sdwa v184, v186, v176 dst_sel:DWORD dst_unused:UNUSED_PAD src0_sel:DWORD src1_sel:WORD_1
	v_fma_f16 v97, v97, v114, -v188
	v_fma_f16 v98, v98, v115, -v113
	v_fma_f16 v99, v99, v116, -v178
	v_fma_f16 v100, v100, v117, -v180
	v_fmac_f16_e32 v187, v186, v176
	v_fma_f16 v106, v106, v175, -v182
	v_fma_f16 v107, v107, v176, -v184
	v_pack_b32_f16 v97, v97, v177
	v_pack_b32_f16 v98, v98, v179
	;; [unrolled: 1-line block ×6, first 2 shown]
	ds_write2_b32 v103, v97, v98 offset0:24 offset1:249
	ds_write2_b32 v111, v99, v100 offset0:26 offset1:251
	ds_write2_b32 v112, v106, v107 offset0:28 offset1:253
.LBB0_17:
	s_or_b32 exec_lo, exec_lo, s2
	v_add_nc_u32_e32 v97, 0x600, v118
	s_waitcnt lgkmcnt(0)
	s_barrier
	buffer_gl0_inv
	ds_read2_b32 v[116:117], v118 offset1:90
	ds_read2_b32 v[112:113], v110 offset0:97 offset1:187
	ds_read2_b32 v[114:115], v97 offset0:66 offset1:156
	ds_read2_b32 v[110:111], v102 offset0:163 offset1:253
	ds_read2_b32 v[100:101], v101 offset0:132 offset1:222
	ds_read2_b32 v[102:103], v174 offset0:101 offset1:191
	ds_read2_b32 v[98:99], v105 offset0:70 offset1:160
	ds_read2_b32 v[106:107], v109 offset0:39 offset1:129
	ds_read2_b32 v[104:105], v104 offset0:8 offset1:98
	ds_read2_b32 v[108:109], v108 offset0:105 offset1:195
	s_and_saveexec_b32 s1, vcc_lo
	s_cbranch_execz .LBB0_19
; %bb.18:
	v_add_nc_u32_e32 v51, 0x280, v118
	v_add_nc_u32_e32 v52, 0x980, v118
	v_add_nc_u32_e32 v53, 0x1080, v118
	v_add_nc_u32_e32 v54, 0x1e80, v118
	ds_read2_b32 v[94:95], v51 offset0:20 offset1:245
	v_add_nc_u32_e32 v51, 0x1780, v118
	ds_read2_b32 v[96:97], v52 offset0:22 offset1:247
	ds_read2_b32 v[91:92], v53 offset0:24 offset1:249
	;; [unrolled: 1-line block ×4, first 2 shown]
	s_waitcnt lgkmcnt(4)
	v_lshrrev_b32_e32 v172, 16, v94
	v_lshrrev_b32_e32 v169, 16, v95
	s_waitcnt lgkmcnt(3)
	v_lshrrev_b32_e32 v173, 16, v96
	v_lshrrev_b32_e32 v170, 16, v97
	;; [unrolled: 3-line block ×5, first 2 shown]
	v_mov_b32_e32 v93, v97
.LBB0_19:
	s_or_b32 exec_lo, exec_lo, s1
	s_waitcnt lgkmcnt(3)
	v_add_f16_e32 v174, v100, v98
	s_waitcnt lgkmcnt(1)
	v_sub_f16_sdwa v175, v114, v104 dst_sel:DWORD dst_unused:UNUSED_PAD src0_sel:WORD_1 src1_sel:WORD_1
	v_add_f16_e32 v178, v114, v104
	v_sub_f16_sdwa v176, v100, v98 dst_sel:DWORD dst_unused:UNUSED_PAD src0_sel:WORD_1 src1_sel:WORD_1
	v_sub_f16_e32 v177, v104, v98
	v_fma_f16 v174, -0.5, v174, v116
	v_sub_f16_e32 v179, v114, v100
	v_fma_f16 v178, -0.5, v178, v116
	v_pk_add_f16 v97, v116, v114
	v_add_f16_sdwa v180, v100, v98 dst_sel:DWORD dst_unused:UNUSED_PAD src0_sel:WORD_1 src1_sel:WORD_1
	v_fmamk_f16 v181, v175, 0xbb9c, v174
	v_fmac_f16_e32 v174, 0x3b9c, v175
	v_lshrrev_b32_e32 v116, 16, v116
	v_add_f16_e32 v177, v179, v177
	v_fmamk_f16 v179, v176, 0x3b9c, v178
	v_fmac_f16_e32 v181, 0xb8b4, v176
	v_fmac_f16_e32 v174, 0x38b4, v176
	v_fmac_f16_e32 v178, 0xbb9c, v176
	v_sub_f16_e32 v182, v114, v104
	v_fma_f16 v180, -0.5, v180, v116
	v_fmac_f16_e32 v181, 0x34f2, v177
	v_fmac_f16_e32 v174, 0x34f2, v177
	;; [unrolled: 1-line block ×3, first 2 shown]
	v_sub_f16_e32 v177, v98, v104
	v_sub_f16_e32 v183, v100, v114
	v_fmac_f16_e32 v178, 0x38b4, v175
	v_add_f16_sdwa v175, v114, v104 dst_sel:DWORD dst_unused:UNUSED_PAD src0_sel:WORD_1 src1_sel:WORD_1
	v_fmamk_f16 v176, v182, 0x3b9c, v180
	v_sub_f16_e32 v184, v100, v98
	v_sub_f16_sdwa v185, v114, v100 dst_sel:DWORD dst_unused:UNUSED_PAD src0_sel:WORD_1 src1_sel:WORD_1
	v_sub_f16_sdwa v186, v104, v98 dst_sel:DWORD dst_unused:UNUSED_PAD src0_sel:WORD_1 src1_sel:WORD_1
	v_add_f16_e32 v177, v183, v177
	v_fmac_f16_e32 v180, 0xbb9c, v182
	v_fmac_f16_e32 v116, -0.5, v175
	v_fmac_f16_e32 v176, 0x38b4, v184
	v_add_f16_e32 v183, v185, v186
	v_fmac_f16_e32 v179, 0x34f2, v177
	v_fmac_f16_e32 v178, 0x34f2, v177
	;; [unrolled: 1-line block ×3, first 2 shown]
	v_fmamk_f16 v177, v184, 0xbb9c, v116
	v_sub_f16_sdwa v114, v100, v114 dst_sel:DWORD dst_unused:UNUSED_PAD src0_sel:WORD_1 src1_sel:WORD_1
	v_sub_f16_sdwa v185, v98, v104 dst_sel:DWORD dst_unused:UNUSED_PAD src0_sel:WORD_1 src1_sel:WORD_1
	v_fmac_f16_e32 v116, 0x3b9c, v184
	v_fmac_f16_e32 v176, 0x34f2, v183
	v_add_f16_e32 v175, v102, v106
	v_fmac_f16_e32 v180, 0x34f2, v183
	v_fmac_f16_e32 v177, 0x38b4, v182
	v_add_f16_e32 v114, v114, v185
	v_fmac_f16_e32 v116, 0xb8b4, v182
	s_waitcnt lgkmcnt(0)
	v_add_f16_e32 v183, v110, v108
	v_fma_f16 v175, -0.5, v175, v112
	v_sub_f16_e32 v188, v106, v108
	v_fmac_f16_e32 v177, 0x34f2, v114
	v_fmac_f16_e32 v116, 0x34f2, v114
	v_fma_f16 v183, -0.5, v183, v112
	v_pk_add_f16 v114, v112, v110
	v_sub_f16_e32 v189, v102, v110
	v_add_f16_sdwa v190, v102, v106 dst_sel:DWORD dst_unused:UNUSED_PAD src0_sel:WORD_1 src1_sel:WORD_1
	v_lshrrev_b32_e32 v112, 16, v112
	v_sub_f16_e32 v191, v110, v108
	v_sub_f16_sdwa v184, v110, v108 dst_sel:DWORD dst_unused:UNUSED_PAD src0_sel:WORD_1 src1_sel:WORD_1
	v_add_f16_e32 v188, v189, v188
	v_add_f16_sdwa v189, v110, v108 dst_sel:DWORD dst_unused:UNUSED_PAD src0_sel:WORD_1 src1_sel:WORD_1
	v_fma_f16 v190, -0.5, v190, v112
	v_sub_f16_e32 v192, v102, v106
	v_sub_f16_sdwa v193, v110, v102 dst_sel:DWORD dst_unused:UNUSED_PAD src0_sel:WORD_1 src1_sel:WORD_1
	v_sub_f16_sdwa v194, v108, v106 dst_sel:DWORD dst_unused:UNUSED_PAD src0_sel:WORD_1 src1_sel:WORD_1
	v_fmac_f16_e32 v112, -0.5, v189
	v_fmamk_f16 v189, v191, 0x3b9c, v190
	v_fmamk_f16 v182, v184, 0xbb9c, v175
	v_sub_f16_sdwa v185, v102, v106 dst_sel:DWORD dst_unused:UNUSED_PAD src0_sel:WORD_1 src1_sel:WORD_1
	v_sub_f16_e32 v186, v108, v106
	v_sub_f16_e32 v187, v110, v102
	v_fmamk_f16 v195, v192, 0xbb9c, v112
	v_sub_f16_sdwa v110, v102, v110 dst_sel:DWORD dst_unused:UNUSED_PAD src0_sel:WORD_1 src1_sel:WORD_1
	v_sub_f16_sdwa v196, v106, v108 dst_sel:DWORD dst_unused:UNUSED_PAD src0_sel:WORD_1 src1_sel:WORD_1
	v_fmac_f16_e32 v112, 0x3b9c, v192
	v_fmac_f16_e32 v189, 0x38b4, v192
	v_add_f16_e32 v193, v193, v194
	v_fmac_f16_e32 v182, 0xb8b4, v185
	v_add_f16_e32 v186, v187, v186
	;; [unrolled: 2-line block ×3, first 2 shown]
	v_fmac_f16_e32 v112, 0xb8b4, v191
	v_fmac_f16_e32 v189, 0x34f2, v193
	;; [unrolled: 1-line block ×3, first 2 shown]
	v_fmamk_f16 v187, v185, 0x3b9c, v183
	v_fmac_f16_e32 v182, 0x34f2, v186
	v_fmac_f16_e32 v175, 0x3b9c, v184
	;; [unrolled: 1-line block ×5, first 2 shown]
	v_mul_f16_e32 v110, 0xb8b4, v189
	v_fmac_f16_e32 v190, 0xb8b4, v192
	v_fmac_f16_e32 v187, 0xb8b4, v184
	;; [unrolled: 1-line block ×6, first 2 shown]
	v_mul_f16_e32 v182, 0x38b4, v182
	v_fmac_f16_e32 v187, 0x34f2, v188
	v_fmac_f16_e32 v183, 0x34f2, v188
	v_mul_f16_e32 v184, 0xbb9c, v195
	v_mul_f16_e32 v188, 0xbb9c, v112
	v_fmac_f16_e32 v175, 0x34f2, v186
	v_mul_f16_e32 v185, 0xb8b4, v190
	v_mul_f16_e32 v186, 0x34f2, v195
	;; [unrolled: 1-line block ×4, first 2 shown]
	v_fmac_f16_e32 v182, 0x3a79, v189
	v_fmac_f16_e32 v184, 0x34f2, v187
	;; [unrolled: 1-line block ×5, first 2 shown]
	v_add_f16_e32 v195, v176, v182
	v_sub_f16_e32 v203, v176, v182
	v_add_f16_e32 v176, v115, v105
	v_fmac_f16_e32 v188, 0xb4f2, v183
	v_add_f16_e32 v191, v179, v184
	v_fmac_f16_e32 v185, 0xba79, v175
	v_add_f16_e32 v196, v177, v186
	v_add_f16_e32 v175, v101, v99
	;; [unrolled: 1-line block ×4, first 2 shown]
	v_sub_f16_e32 v200, v179, v184
	v_sub_f16_e32 v204, v177, v186
	v_sub_f16_sdwa v177, v101, v99 dst_sel:DWORD dst_unused:UNUSED_PAD src0_sel:WORD_1 src1_sel:WORD_1
	v_sub_f16_e32 v205, v116, v112
	v_sub_f16_e32 v206, v180, v190
	v_fma_f16 v112, -0.5, v176, v117
	v_sub_f16_e32 v179, v99, v105
	v_sub_f16_e32 v180, v101, v115
	v_add_f16_e32 v193, v181, v110
	v_add_f16_e32 v192, v178, v188
	v_sub_f16_e32 v199, v181, v110
	v_fma_f16 v110, -0.5, v175, v117
	v_sub_f16_sdwa v175, v115, v105 dst_sel:DWORD dst_unused:UNUSED_PAD src0_sel:WORD_1 src1_sel:WORD_1
	v_sub_f16_e32 v201, v178, v188
	v_pk_add_f16 v207, v117, v115
	v_sub_f16_e32 v116, v105, v99
	v_sub_f16_e32 v176, v115, v101
	v_fmamk_f16 v178, v177, 0x3b9c, v112
	v_add_f16_sdwa v181, v101, v99 dst_sel:DWORD dst_unused:UNUSED_PAD src0_sel:WORD_1 src1_sel:WORD_1
	v_lshrrev_b32_e32 v182, 16, v117
	v_add_f16_e32 v117, v180, v179
	v_fmac_f16_e32 v112, 0xbb9c, v177
	v_sub_f16_sdwa v180, v115, v101 dst_sel:DWORD dst_unused:UNUSED_PAD src0_sel:WORD_1 src1_sel:WORD_1
	v_sub_f16_sdwa v183, v105, v99 dst_sel:DWORD dst_unused:UNUSED_PAD src0_sel:WORD_1 src1_sel:WORD_1
	v_add_f16_e32 v194, v174, v185
	v_sub_f16_e32 v202, v174, v185
	v_fmamk_f16 v174, v175, 0xbb9c, v110
	v_fmac_f16_e32 v110, 0x3b9c, v175
	v_add_f16_e32 v116, v176, v116
	v_fmac_f16_e32 v178, 0xb8b4, v175
	v_fma_f16 v176, -0.5, v181, v182
	v_add_f16_sdwa v181, v115, v105 dst_sel:DWORD dst_unused:UNUSED_PAD src0_sel:WORD_1 src1_sel:WORD_1
	v_fmac_f16_e32 v112, 0x38b4, v175
	v_add_f16_e32 v175, v180, v183
	v_add_f16_e32 v180, v103, v107
	v_fmac_f16_e32 v174, 0xb8b4, v177
	v_fmac_f16_e32 v110, 0x38b4, v177
	v_sub_f16_e32 v179, v115, v105
	v_fmac_f16_e32 v178, 0x34f2, v117
	v_sub_f16_e32 v177, v101, v99
	v_fmac_f16_e32 v182, -0.5, v181
	v_fmac_f16_e32 v112, 0x34f2, v117
	v_fma_f16 v117, -0.5, v180, v113
	v_sub_f16_sdwa v115, v101, v115 dst_sel:DWORD dst_unused:UNUSED_PAD src0_sel:WORD_1 src1_sel:WORD_1
	v_sub_f16_sdwa v180, v99, v105 dst_sel:DWORD dst_unused:UNUSED_PAD src0_sel:WORD_1 src1_sel:WORD_1
	v_fmamk_f16 v181, v177, 0xbb9c, v182
	v_fmac_f16_e32 v182, 0x3b9c, v177
	v_sub_f16_e32 v184, v109, v107
	v_sub_f16_e32 v185, v111, v103
	v_add_f16_e32 v115, v115, v180
	v_add_f16_e32 v180, v111, v109
	v_fmac_f16_e32 v174, 0x34f2, v116
	v_fmac_f16_e32 v110, 0x34f2, v116
	v_fmamk_f16 v116, v179, 0x3b9c, v176
	v_fmac_f16_e32 v176, 0xbb9c, v179
	v_fmac_f16_e32 v181, 0x38b4, v179
	;; [unrolled: 1-line block ×3, first 2 shown]
	v_add_f16_e32 v179, v185, v184
	v_fma_f16 v180, -0.5, v180, v113
	v_pk_add_f16 v208, v113, v111
	v_add_f16_sdwa v184, v103, v107 dst_sel:DWORD dst_unused:UNUSED_PAD src0_sel:WORD_1 src1_sel:WORD_1
	v_lshrrev_b32_e32 v113, 16, v113
	v_fmac_f16_e32 v116, 0x38b4, v177
	v_fmac_f16_e32 v176, 0xb8b4, v177
	v_sub_f16_e32 v185, v107, v109
	v_sub_f16_e32 v186, v103, v111
	v_add_f16_sdwa v187, v111, v109 dst_sel:DWORD dst_unused:UNUSED_PAD src0_sel:WORD_1 src1_sel:WORD_1
	v_fma_f16 v184, -0.5, v184, v113
	v_sub_f16_e32 v188, v111, v109
	v_fmac_f16_e32 v116, 0x34f2, v175
	v_fmac_f16_e32 v176, 0x34f2, v175
	v_sub_f16_sdwa v175, v111, v109 dst_sel:DWORD dst_unused:UNUSED_PAD src0_sel:WORD_1 src1_sel:WORD_1
	v_add_f16_e32 v185, v186, v185
	v_sub_f16_e32 v186, v103, v107
	v_fmac_f16_e32 v113, -0.5, v187
	v_fmamk_f16 v187, v188, 0x3b9c, v184
	v_sub_f16_sdwa v189, v111, v103 dst_sel:DWORD dst_unused:UNUSED_PAD src0_sel:WORD_1 src1_sel:WORD_1
	v_sub_f16_sdwa v190, v109, v107 dst_sel:DWORD dst_unused:UNUSED_PAD src0_sel:WORD_1 src1_sel:WORD_1
	v_fmac_f16_e32 v184, 0xbb9c, v188
	v_fmamk_f16 v177, v175, 0xbb9c, v117
	v_sub_f16_sdwa v183, v103, v107 dst_sel:DWORD dst_unused:UNUSED_PAD src0_sel:WORD_1 src1_sel:WORD_1
	v_fmac_f16_e32 v117, 0x3b9c, v175
	v_fmamk_f16 v209, v186, 0xbb9c, v113
	v_sub_f16_sdwa v111, v103, v111 dst_sel:DWORD dst_unused:UNUSED_PAD src0_sel:WORD_1 src1_sel:WORD_1
	v_sub_f16_sdwa v210, v107, v109 dst_sel:DWORD dst_unused:UNUSED_PAD src0_sel:WORD_1 src1_sel:WORD_1
	v_fmac_f16_e32 v113, 0x3b9c, v186
	v_fmac_f16_e32 v187, 0x38b4, v186
	v_add_f16_e32 v189, v189, v190
	v_fmac_f16_e32 v184, 0xb8b4, v186
	v_fmac_f16_e32 v177, 0xb8b4, v183
	;; [unrolled: 1-line block ×4, first 2 shown]
	v_fmamk_f16 v115, v183, 0x3b9c, v180
	v_fmac_f16_e32 v180, 0xbb9c, v183
	v_fmac_f16_e32 v209, 0x38b4, v188
	v_add_f16_e32 v111, v111, v210
	v_fmac_f16_e32 v113, 0xb8b4, v188
	v_fmac_f16_e32 v187, 0x34f2, v189
	;; [unrolled: 1-line block ×9, first 2 shown]
	v_mul_f16_e32 v111, 0xb8b4, v187
	v_fmac_f16_e32 v117, 0x34f2, v179
	v_mul_f16_e32 v179, 0xb8b4, v184
	v_fmac_f16_e32 v115, 0x34f2, v185
	v_fmac_f16_e32 v180, 0x34f2, v185
	v_mul_f16_e32 v185, 0xbb9c, v113
	v_fmac_f16_e32 v111, 0x3a79, v177
	v_mul_f16_e32 v113, 0xb4f2, v113
	;; [unrolled: 2-line block ×3, first 2 shown]
	v_fmac_f16_e32 v185, 0xb4f2, v180
	v_add_f16_e32 v210, v174, v111
	v_mul_f16_e32 v177, 0x38b4, v177
	v_mul_f16_e32 v183, 0x34f2, v209
	;; [unrolled: 1-line block ×3, first 2 shown]
	v_fmac_f16_e32 v113, 0x3b9c, v180
	v_add_f16_e32 v209, v110, v179
	v_sub_f16_e32 v217, v174, v111
	v_add_f16_e32 v111, v91, v51
	v_sub_f16_e32 v220, v110, v179
	v_add_f16_e32 v110, v94, v96
	v_fmac_f16_e32 v175, 0x34f2, v115
	v_add_f16_e32 v212, v112, v185
	v_fmac_f16_e32 v177, 0x3a79, v187
	v_fmac_f16_e32 v183, 0x3b9c, v115
	;; [unrolled: 1-line block ×3, first 2 shown]
	v_add_f16_e32 v215, v182, v113
	v_sub_f16_e32 v219, v112, v185
	v_fma_f16 v117, -0.5, v111, v94
	v_sub_f16_e32 v174, v173, v150
	v_sub_f16_e32 v223, v182, v113
	v_add_f16_e32 v111, v110, v91
	v_sub_f16_e32 v112, v96, v91
	v_sub_f16_e32 v113, v53, v51
	v_add_f16_e32 v115, v172, v173
	v_add_f16_e32 v213, v116, v177
	;; [unrolled: 1-line block ×3, first 2 shown]
	v_sub_f16_e32 v221, v116, v177
	v_sub_f16_e32 v224, v176, v184
	v_fmamk_f16 v110, v174, 0xbb9c, v117
	v_sub_f16_e32 v176, v171, v167
	v_add_f16_e32 v111, v111, v51
	v_add_f16_e32 v116, v171, v167
	;; [unrolled: 1-line block ×3, first 2 shown]
	v_fmac_f16_e32 v117, 0x3b9c, v174
	v_add_f16_e32 v113, v115, v171
	v_add_f16_e32 v211, v178, v175
	v_sub_f16_e32 v218, v178, v175
	v_fmac_f16_e32 v110, 0xb8b4, v176
	v_fma_f16 v182, -0.5, v116, v172
	v_sub_f16_e32 v179, v96, v53
	v_add_f16_e32 v175, v111, v53
	v_fmac_f16_e32 v117, 0x38b4, v176
	v_add_f16_e32 v111, v113, v167
	v_sub_f16_e32 v113, v173, v171
	v_sub_f16_e32 v115, v150, v167
	v_add_f16_e32 v214, v181, v183
	v_sub_f16_e32 v222, v181, v183
	v_fmac_f16_e32 v110, 0x34f2, v112
	v_fmamk_f16 v177, v179, 0x3b9c, v182
	v_sub_f16_e32 v181, v91, v51
	v_fmac_f16_e32 v117, 0x34f2, v112
	v_add_f16_e32 v178, v111, v150
	v_add_f16_e32 v111, v92, v52
	;; [unrolled: 1-line block ×3, first 2 shown]
	v_fmac_f16_e32 v182, 0xbb9c, v179
	v_add_f16_e32 v113, v95, v93
	v_add_f16_e32 v115, v168, v145
	v_fmac_f16_e32 v177, 0x38b4, v181
	v_fma_f16 v111, -0.5, v111, v95
	v_sub_f16_e32 v180, v170, v147
	v_fmac_f16_e32 v182, 0xb8b4, v181
	v_add_f16_e32 v113, v113, v92
	v_fma_f16 v115, -0.5, v115, v169
	v_sub_f16_e32 v188, v93, v54
	v_fmac_f16_e32 v177, 0x34f2, v112
	v_fmamk_f16 v116, v180, 0xbb9c, v111
	v_sub_f16_e32 v187, v168, v145
	v_fmac_f16_e32 v182, 0x34f2, v112
	v_add_f16_e32 v112, v113, v52
	v_sub_f16_e32 v113, v93, v92
	v_fmamk_f16 v225, v188, 0x3b9c, v115
	v_sub_f16_e32 v189, v92, v52
	v_sub_f16_e32 v183, v170, v168
	;; [unrolled: 1-line block ×4, first 2 shown]
	v_fmac_f16_e32 v115, 0xbb9c, v188
	v_pk_add_f16 v100, v97, v100
	v_fmac_f16_e32 v116, 0xb8b4, v187
	v_add_f16_e32 v186, v169, v170
	v_fmac_f16_e32 v225, 0x38b4, v189
	v_add_f16_e32 v183, v183, v184
	v_fmac_f16_e32 v111, 0x3b9c, v180
	v_fmac_f16_e32 v115, 0xb8b4, v189
	v_add_f16_e32 v113, v113, v185
	v_pk_add_f16 v102, v114, v102
	v_pk_add_f16 v98, v100, v98
	v_add_f16_e32 v184, v186, v168
	v_fmac_f16_e32 v225, 0x34f2, v183
	v_fmac_f16_e32 v111, 0x38b4, v187
	;; [unrolled: 1-line block ×4, first 2 shown]
	v_pk_add_f16 v100, v102, v106
	v_pk_add_f16 v98, v98, v104
	;; [unrolled: 1-line block ×4, first 2 shown]
	v_add_f16_e32 v185, v184, v145
	v_mul_f16_e32 v183, 0xb8b4, v225
	v_fmac_f16_e32 v111, 0x34f2, v113
	v_mul_f16_e32 v186, 0xb8b4, v115
	v_mul_f16_e32 v190, 0xba79, v115
	;; [unrolled: 1-line block ×3, first 2 shown]
	v_pk_add_f16 v102, v100, v108
	v_pk_add_f16 v104, v104, v99
	;; [unrolled: 1-line block ×3, first 2 shown]
	v_add_f16_e32 v184, v112, v54
	v_add_f16_e32 v185, v185, v147
	v_fmac_f16_e32 v183, 0x3a79, v116
	v_fmac_f16_e32 v186, 0xba79, v111
	;; [unrolled: 1-line block ×4, first 2 shown]
	v_pk_add_f16 v100, v98, v102
	v_pack_b32_f16 v192, v192, v197
	v_pack_b32_f16 v191, v191, v196
	;; [unrolled: 1-line block ×3, first 2 shown]
	v_pk_add_f16 v108, v104, v105
	v_pk_add_f16 v109, v103, v109
	v_add_f16_e32 v111, v117, v186
	v_add_f16_e32 v112, v182, v190
	v_sub_f16_e32 v115, v175, v184
	v_sub_f16_e32 v113, v110, v183
	;; [unrolled: 1-line block ×4, first 2 shown]
	s_barrier
	buffer_gl0_inv
	ds_write2_b64 v149, v[100:101], v[191:192] offset1:1
	v_pk_add_f16 v99, v98, v102 neg_lo:[0,1] neg_hi:[0,1]
	v_pack_b32_f16 v101, v200, v204
	v_pack_b32_f16 v100, v199, v203
	;; [unrolled: 1-line block ×5, first 2 shown]
	v_pk_add_f16 v104, v108, v109
	v_pack_b32_f16 v107, v212, v215
	v_pack_b32_f16 v106, v211, v214
	;; [unrolled: 1-line block ×3, first 2 shown]
	v_pk_add_f16 v109, v108, v109 neg_lo:[0,1] neg_hi:[0,1]
	v_pack_b32_f16 v192, v218, v222
	v_pack_b32_f16 v191, v217, v221
	;; [unrolled: 1-line block ×5, first 2 shown]
	ds_write2_b64 v149, v[98:99], v[100:101] offset0:2 offset1:3
	ds_write_b64 v149, v[102:103] offset:32
	ds_write2_b64 v154, v[104:105], v[106:107] offset1:1
	ds_write2_b64 v154, v[108:109], v[191:192] offset0:2 offset1:3
	ds_write_b64 v154, v[193:194] offset:32
	s_and_saveexec_b32 s1, vcc_lo
	s_cbranch_execz .LBB0_21
; %bb.20:
	v_add_f16_e32 v98, v173, v150
	v_sub_f16_e32 v99, v171, v173
	v_add_f16_e32 v100, v170, v147
	v_sub_f16_e32 v101, v167, v150
	v_add_f16_e32 v102, v93, v54
	v_fmac_f16_e32 v172, -0.5, v98
	v_sub_f16_e32 v98, v168, v170
	v_fmac_f16_e32 v169, -0.5, v100
	v_add_f16_e32 v99, v99, v101
	v_sub_f16_e32 v101, v145, v147
	v_fmac_f16_e32 v95, -0.5, v102
	v_sub_f16_e32 v92, v92, v93
	v_fmamk_f16 v102, v189, 0x3b9c, v169
	v_fmac_f16_e32 v169, 0xbb9c, v189
	v_add_f16_e32 v93, v98, v101
	v_add_f16_e32 v101, v96, v53
	v_sub_f16_e32 v52, v52, v54
	v_fmamk_f16 v54, v187, 0xbb9c, v95
	v_fmac_f16_e32 v102, 0xb8b4, v188
	v_fmac_f16_e32 v95, 0x3b9c, v187
	;; [unrolled: 1-line block ×3, first 2 shown]
	v_fmac_f16_e32 v94, -0.5, v101
	v_fmamk_f16 v100, v181, 0x3b9c, v172
	v_add_f16_e32 v52, v92, v52
	v_fmac_f16_e32 v54, 0x38b4, v180
	v_fmac_f16_e32 v102, 0x34f2, v93
	;; [unrolled: 1-line block ×5, first 2 shown]
	v_sub_f16_e32 v91, v91, v96
	v_sub_f16_e32 v51, v51, v53
	v_fmamk_f16 v53, v176, 0xbb9c, v94
	v_fmac_f16_e32 v94, 0x3b9c, v176
	v_fmac_f16_e32 v100, 0xb8b4, v179
	;; [unrolled: 1-line block ×3, first 2 shown]
	v_mul_f16_e32 v92, 0xb4f2, v102
	v_fmac_f16_e32 v172, 0x38b4, v179
	v_fmac_f16_e32 v95, 0x34f2, v52
	v_mul_f16_e32 v52, 0x34f2, v169
	v_add_f16_e32 v51, v91, v51
	v_fmac_f16_e32 v53, 0x38b4, v174
	v_mul_f16_e32 v91, 0xbb9c, v102
	v_fmac_f16_e32 v94, 0xb8b4, v174
	v_mul_f16_e32 v93, 0xbb9c, v169
	v_fmac_f16_e32 v100, 0x34f2, v99
	v_fmac_f16_e32 v92, 0x3b9c, v54
	;; [unrolled: 1-line block ×8, first 2 shown]
	v_sub_f16_e32 v95, v100, v92
	v_sub_f16_e32 v96, v172, v52
	;; [unrolled: 1-line block ×3, first 2 shown]
	v_add_f16_e32 v51, v100, v92
	v_sub_f16_e32 v102, v94, v93
	v_add_f16_e32 v54, v172, v52
	v_add_f16_e32 v92, v177, v97
	v_add_f16_e32 v97, v178, v185
	v_add_f16_e32 v52, v53, v91
	v_add_f16_e32 v53, v94, v93
	v_add_f16_e32 v91, v110, v183
	v_add_f16_e32 v93, v175, v184
	v_sub_f16_e32 v98, v182, v190
	v_sub_f16_e32 v99, v117, v186
	v_lshlrev_b32_e32 v100, 2, v140
	v_pack_b32_f16 v52, v52, v51
	v_pack_b32_f16 v51, v53, v54
	;; [unrolled: 1-line block ×5, first 2 shown]
	v_perm_b32 v91, v114, v113, 0x5040100
	v_perm_b32 v94, v116, v115, 0x5040100
	;; [unrolled: 1-line block ×3, first 2 shown]
	v_pack_b32_f16 v95, v101, v95
	v_pack_b32_f16 v96, v99, v98
	ds_write2_b64 v100, v[53:54], v[51:52] offset1:1
	ds_write2_b64 v100, v[93:94], v[91:92] offset0:2 offset1:3
	ds_write_b64 v100, v[95:96] offset:32
.LBB0_21:
	s_or_b32 exec_lo, exec_lo, s1
	v_add_nc_u32_e32 v51, 0xa00, v118
	s_waitcnt lgkmcnt(0)
	s_barrier
	buffer_gl0_inv
	ds_read2_b32 v[53:54], v118 offset1:90
	ds_read2_b32 v[107:108], v51 offset0:110 offset1:200
	v_add_nc_u32_e32 v51, 0x1600, v118
	v_add_nc_u32_e32 v52, 0x200, v118
	;; [unrolled: 1-line block ×5, first 2 shown]
	ds_read2_b32 v[109:110], v51 offset0:92 offset1:182
	ds_read2_b32 v[93:94], v52 offset0:52 offset1:142
	;; [unrolled: 1-line block ×5, first 2 shown]
	v_add_nc_u32_e32 v91, 0x1000, v118
	v_add_nc_u32_e32 v92, 0x1c00, v118
	;; [unrolled: 1-line block ×5, first 2 shown]
	ds_read2_b32 v[101:102], v91 offset0:86 offset1:176
	ds_read2_b32 v[99:100], v92 offset0:68 offset1:158
	;; [unrolled: 1-line block ×5, first 2 shown]
	s_and_saveexec_b32 s1, s0
	s_cbranch_execz .LBB0_23
; %bb.22:
	ds_read_b32 v111, v118 offset:2880
	ds_read_b32 v115, v118 offset:5880
	;; [unrolled: 1-line block ×3, first 2 shown]
	s_waitcnt lgkmcnt(2)
	v_lshrrev_b32_e32 v112, 16, v111
	s_waitcnt lgkmcnt(1)
	v_lshrrev_b32_e32 v116, 16, v115
	s_waitcnt lgkmcnt(0)
	v_lshrrev_b32_e32 v114, 16, v113
.LBB0_23:
	s_or_b32 exec_lo, exec_lo, s1
	s_waitcnt lgkmcnt(10)
	v_lshrrev_b32_e32 v140, 16, v107
	s_waitcnt lgkmcnt(9)
	v_lshrrev_b32_e32 v145, 16, v109
	v_lshrrev_b32_e32 v149, 16, v108
	;; [unrolled: 1-line block ×3, first 2 shown]
	s_waitcnt lgkmcnt(7)
	v_lshrrev_b32_e32 v167, 16, v105
	v_mul_f16_sdwa v183, v71, v140 dst_sel:DWORD dst_unused:UNUSED_PAD src0_sel:WORD_1 src1_sel:DWORD
	v_mul_f16_sdwa v185, v72, v145 dst_sel:DWORD dst_unused:UNUSED_PAD src0_sel:WORD_1 src1_sel:DWORD
	v_mul_f16_sdwa v184, v71, v107 dst_sel:DWORD dst_unused:UNUSED_PAD src0_sel:WORD_1 src1_sel:DWORD
	v_mul_f16_sdwa v187, v72, v109 dst_sel:DWORD dst_unused:UNUSED_PAD src0_sel:WORD_1 src1_sel:DWORD
	s_waitcnt lgkmcnt(6)
	v_lshrrev_b32_e32 v168, 16, v103
	v_fmac_f16_e32 v183, v71, v107
	v_fmac_f16_e32 v185, v72, v109
	v_mul_f16_sdwa v107, v69, v149 dst_sel:DWORD dst_unused:UNUSED_PAD src0_sel:WORD_1 src1_sel:DWORD
	v_mul_f16_sdwa v109, v69, v108 dst_sel:DWORD dst_unused:UNUSED_PAD src0_sel:WORD_1 src1_sel:DWORD
	v_lshrrev_b32_e32 v170, 16, v106
	v_fma_f16 v71, v71, v140, -v184
	v_fma_f16 v72, v72, v145, -v187
	v_mul_f16_sdwa v140, v70, v150 dst_sel:DWORD dst_unused:UNUSED_PAD src0_sel:WORD_1 src1_sel:DWORD
	v_mul_f16_sdwa v145, v70, v110 dst_sel:DWORD dst_unused:UNUSED_PAD src0_sel:WORD_1 src1_sel:DWORD
	v_fmac_f16_e32 v107, v69, v108
	v_mul_f16_sdwa v108, v67, v167 dst_sel:DWORD dst_unused:UNUSED_PAD src0_sel:WORD_1 src1_sel:DWORD
	v_fma_f16 v69, v69, v149, -v109
	v_mul_f16_sdwa v109, v67, v105 dst_sel:DWORD dst_unused:UNUSED_PAD src0_sel:WORD_1 src1_sel:DWORD
	v_lshrrev_b32_e32 v171, 16, v104
	s_waitcnt lgkmcnt(4)
	v_lshrrev_b32_e32 v173, 16, v101
	v_fmac_f16_e32 v140, v70, v110
	v_fma_f16 v70, v70, v150, -v145
	v_fmac_f16_e32 v108, v67, v105
	v_mul_f16_sdwa v105, v68, v168 dst_sel:DWORD dst_unused:UNUSED_PAD src0_sel:WORD_1 src1_sel:DWORD
	v_mul_f16_sdwa v110, v68, v103 dst_sel:DWORD dst_unused:UNUSED_PAD src0_sel:WORD_1 src1_sel:DWORD
	;; [unrolled: 1-line block ×3, first 2 shown]
	v_fma_f16 v67, v67, v167, -v109
	v_mul_f16_sdwa v109, v65, v106 dst_sel:DWORD dst_unused:UNUSED_PAD src0_sel:WORD_1 src1_sel:DWORD
	s_waitcnt lgkmcnt(3)
	v_lshrrev_b32_e32 v174, 16, v99
	v_lshrrev_b32_e32 v177, 16, v100
	v_fmac_f16_e32 v105, v68, v103
	v_fma_f16 v68, v68, v168, -v110
	v_fmac_f16_e32 v145, v65, v106
	v_mul_f16_sdwa v103, v66, v171 dst_sel:DWORD dst_unused:UNUSED_PAD src0_sel:WORD_1 src1_sel:DWORD
	v_fma_f16 v65, v65, v170, -v109
	v_mul_f16_sdwa v109, v63, v173 dst_sel:DWORD dst_unused:UNUSED_PAD src0_sel:WORD_1 src1_sel:DWORD
	v_mul_f16_sdwa v110, v63, v101 dst_sel:DWORD dst_unused:UNUSED_PAD src0_sel:WORD_1 src1_sel:DWORD
	v_lshrrev_b32_e32 v176, 16, v102
	s_waitcnt lgkmcnt(1)
	v_lshrrev_b32_e32 v179, 16, v97
	v_mul_f16_sdwa v106, v66, v104 dst_sel:DWORD dst_unused:UNUSED_PAD src0_sel:WORD_1 src1_sel:DWORD
	v_fmac_f16_e32 v103, v66, v104
	v_mul_f16_sdwa v104, v64, v174 dst_sel:DWORD dst_unused:UNUSED_PAD src0_sel:WORD_1 src1_sel:DWORD
	v_fmac_f16_e32 v109, v63, v101
	v_fma_f16 v63, v63, v173, -v110
	v_mul_f16_sdwa v101, v64, v99 dst_sel:DWORD dst_unused:UNUSED_PAD src0_sel:WORD_1 src1_sel:DWORD
	v_mul_f16_sdwa v110, v62, v177 dst_sel:DWORD dst_unused:UNUSED_PAD src0_sel:WORD_1 src1_sel:DWORD
	s_waitcnt lgkmcnt(0)
	v_lshrrev_b32_e32 v180, 16, v95
	v_lshrrev_b32_e32 v182, 16, v98
	v_fma_f16 v66, v66, v171, -v106
	v_fmac_f16_e32 v104, v64, v99
	v_mul_f16_sdwa v99, v61, v176 dst_sel:DWORD dst_unused:UNUSED_PAD src0_sel:WORD_1 src1_sel:DWORD
	v_mul_f16_sdwa v106, v61, v102 dst_sel:DWORD dst_unused:UNUSED_PAD src0_sel:WORD_1 src1_sel:DWORD
	v_fma_f16 v64, v64, v174, -v101
	v_mul_f16_sdwa v101, v62, v100 dst_sel:DWORD dst_unused:UNUSED_PAD src0_sel:WORD_1 src1_sel:DWORD
	v_fmac_f16_e32 v110, v62, v100
	v_mul_f16_sdwa v100, v59, v179 dst_sel:DWORD dst_unused:UNUSED_PAD src0_sel:WORD_1 src1_sel:DWORD
	v_lshrrev_b32_e32 v186, 16, v96
	v_fmac_f16_e32 v99, v61, v102
	v_fma_f16 v102, v61, v176, -v106
	v_fma_f16 v101, v62, v177, -v101
	v_mul_f16_sdwa v61, v59, v97 dst_sel:DWORD dst_unused:UNUSED_PAD src0_sel:WORD_1 src1_sel:DWORD
	v_mul_f16_sdwa v106, v60, v180 dst_sel:DWORD dst_unused:UNUSED_PAD src0_sel:WORD_1 src1_sel:DWORD
	;; [unrolled: 1-line block ×3, first 2 shown]
	v_fmac_f16_e32 v100, v59, v97
	v_mul_f16_sdwa v97, v57, v182 dst_sel:DWORD dst_unused:UNUSED_PAD src0_sel:WORD_1 src1_sel:DWORD
	v_fma_f16 v59, v59, v179, -v61
	v_fmac_f16_e32 v106, v60, v95
	v_fma_f16 v60, v60, v180, -v62
	v_mul_f16_sdwa v62, v57, v98 dst_sel:DWORD dst_unused:UNUSED_PAD src0_sel:WORD_1 src1_sel:DWORD
	v_fmac_f16_e32 v97, v57, v98
	v_mul_f16_sdwa v95, v58, v186 dst_sel:DWORD dst_unused:UNUSED_PAD src0_sel:WORD_1 src1_sel:DWORD
	v_mul_f16_sdwa v98, v58, v96 dst_sel:DWORD dst_unused:UNUSED_PAD src0_sel:WORD_1 src1_sel:DWORD
	;; [unrolled: 1-line block ×3, first 2 shown]
	v_lshrrev_b32_e32 v117, 16, v53
	v_fma_f16 v57, v57, v182, -v62
	v_fmac_f16_e32 v95, v58, v96
	v_fma_f16 v58, v58, v186, -v98
	v_add_f16_e32 v96, v183, v185
	v_mul_f16_sdwa v98, v56, v113 dst_sel:DWORD dst_unused:UNUSED_PAD src0_sel:WORD_1 src1_sel:DWORD
	v_mul_f16_sdwa v62, v55, v115 dst_sel:DWORD dst_unused:UNUSED_PAD src0_sel:WORD_1 src1_sel:DWORD
	v_fmac_f16_e32 v61, v55, v115
	v_add_f16_e32 v115, v53, v183
	v_fma_f16 v96, -0.5, v96, v53
	v_fma_f16 v53, v56, v114, -v98
	v_add_f16_e32 v98, v71, v72
	v_fma_f16 v62, v55, v116, -v62
	v_mul_f16_sdwa v55, v56, v114 dst_sel:DWORD dst_unused:UNUSED_PAD src0_sel:WORD_1 src1_sel:DWORD
	v_sub_f16_e32 v116, v71, v72
	v_add_f16_e32 v71, v117, v71
	v_add_f16_e32 v114, v107, v140
	v_fmac_f16_e32 v117, -0.5, v98
	v_sub_f16_e32 v98, v183, v185
	v_lshrrev_b32_e32 v147, 16, v54
	v_fmac_f16_e32 v55, v56, v113
	v_add_f16_e32 v56, v115, v185
	v_add_f16_e32 v71, v71, v72
	;; [unrolled: 1-line block ×3, first 2 shown]
	v_fmac_f16_e32 v54, -0.5, v114
	v_sub_f16_e32 v114, v69, v70
	v_fmamk_f16 v115, v98, 0x3aee, v117
	v_fmac_f16_e32 v117, 0xbaee, v98
	v_add_f16_e32 v98, v69, v70
	v_fmamk_f16 v113, v116, 0xbaee, v96
	v_fmac_f16_e32 v96, 0x3aee, v116
	v_fmamk_f16 v116, v114, 0xbaee, v54
	v_add_f16_e32 v69, v147, v69
	v_fmac_f16_e32 v54, 0x3aee, v114
	v_add_f16_e32 v114, v108, v105
	v_fmac_f16_e32 v147, -0.5, v98
	v_sub_f16_e32 v98, v107, v140
	v_lshrrev_b32_e32 v154, 16, v93
	v_add_f16_e32 v69, v69, v70
	v_add_f16_e32 v70, v93, v108
	v_fma_f16 v93, -0.5, v114, v93
	v_sub_f16_e32 v107, v67, v68
	v_fmamk_f16 v114, v98, 0x3aee, v147
	v_fmac_f16_e32 v147, 0xbaee, v98
	v_add_f16_e32 v98, v67, v68
	v_add_f16_e32 v72, v72, v140
	v_fmamk_f16 v140, v107, 0xbaee, v93
	v_add_f16_e32 v67, v154, v67
	v_fmac_f16_e32 v93, 0x3aee, v107
	v_add_f16_e32 v107, v145, v103
	v_fmac_f16_e32 v154, -0.5, v98
	v_sub_f16_e32 v98, v108, v105
	v_lshrrev_b32_e32 v169, 16, v94
	v_add_f16_e32 v70, v70, v105
	v_add_f16_e32 v67, v67, v68
	;; [unrolled: 1-line block ×3, first 2 shown]
	v_fmac_f16_e32 v94, -0.5, v107
	v_sub_f16_e32 v105, v65, v66
	v_fmamk_f16 v107, v98, 0x3aee, v154
	v_fmac_f16_e32 v154, 0xbaee, v98
	v_add_f16_e32 v98, v65, v66
	v_add_f16_e32 v65, v169, v65
	v_fmamk_f16 v108, v105, 0xbaee, v94
	v_fmac_f16_e32 v94, 0x3aee, v105
	v_add_f16_e32 v105, v109, v104
	v_fmac_f16_e32 v169, -0.5, v98
	v_sub_f16_e32 v98, v145, v103
	v_lshrrev_b32_e32 v172, 16, v51
	v_add_f16_e32 v68, v68, v103
	v_add_f16_e32 v65, v65, v66
	;; [unrolled: 1-line block ×3, first 2 shown]
	v_fma_f16 v51, -0.5, v105, v51
	v_sub_f16_e32 v103, v63, v64
	v_fmamk_f16 v105, v98, 0x3aee, v169
	v_fmac_f16_e32 v169, 0xbaee, v98
	v_add_f16_e32 v98, v63, v64
	v_lshrrev_b32_e32 v175, 16, v52
	v_fmamk_f16 v145, v103, 0xbaee, v51
	v_add_f16_e32 v63, v172, v63
	v_fmac_f16_e32 v51, 0x3aee, v103
	v_add_f16_e32 v103, v99, v110
	v_fmac_f16_e32 v172, -0.5, v98
	v_sub_f16_e32 v98, v109, v104
	v_add_f16_e32 v66, v66, v104
	v_add_f16_e32 v63, v63, v64
	;; [unrolled: 1-line block ×3, first 2 shown]
	v_fmac_f16_e32 v52, -0.5, v103
	v_sub_f16_e32 v103, v102, v101
	v_fmamk_f16 v104, v98, 0x3aee, v172
	v_fmac_f16_e32 v172, 0xbaee, v98
	v_add_f16_e32 v98, v102, v101
	v_add_f16_e32 v102, v175, v102
	v_lshrrev_b32_e32 v178, 16, v91
	v_fmamk_f16 v109, v103, 0xbaee, v52
	v_fmac_f16_e32 v52, 0x3aee, v103
	v_add_f16_e32 v103, v100, v106
	v_fmac_f16_e32 v175, -0.5, v98
	v_sub_f16_e32 v98, v99, v110
	v_add_f16_e32 v99, v102, v101
	v_add_f16_e32 v101, v91, v100
	v_fma_f16 v91, -0.5, v103, v91
	v_sub_f16_e32 v102, v59, v60
	v_fmamk_f16 v103, v98, 0x3aee, v175
	v_fmac_f16_e32 v175, 0xbaee, v98
	v_add_f16_e32 v98, v101, v106
	v_add_f16_e32 v101, v59, v60
	;; [unrolled: 1-line block ×3, first 2 shown]
	v_lshrrev_b32_e32 v181, 16, v92
	v_add_f16_e32 v64, v64, v110
	v_fmamk_f16 v110, v102, 0xbaee, v91
	v_fmac_f16_e32 v91, 0x3aee, v102
	v_add_f16_e32 v102, v97, v95
	v_fmac_f16_e32 v178, -0.5, v101
	v_sub_f16_e32 v100, v100, v106
	v_add_f16_e32 v101, v59, v60
	v_add_f16_e32 v59, v92, v97
	v_fmac_f16_e32 v92, -0.5, v102
	v_sub_f16_e32 v60, v57, v58
	v_fmamk_f16 v102, v100, 0x3aee, v178
	v_fmac_f16_e32 v178, 0xbaee, v100
	v_add_f16_e32 v100, v59, v95
	v_add_f16_e32 v59, v181, v57
	v_pack_b32_f16 v56, v56, v71
	v_pack_b32_f16 v71, v113, v115
	v_add_f16_e32 v57, v57, v58
	v_fmamk_f16 v106, v60, 0xbaee, v92
	v_fmac_f16_e32 v92, 0x3aee, v60
	v_add_f16_e32 v60, v61, v55
	v_add_f16_e32 v149, v59, v58
	;; [unrolled: 1-line block ×3, first 2 shown]
	s_barrier
	buffer_gl0_inv
	ds_write2_b32 v153, v56, v71 offset1:10
	v_pack_b32_f16 v56, v96, v117
	v_pack_b32_f16 v69, v72, v69
	;; [unrolled: 1-line block ×4, first 2 shown]
	v_fmac_f16_e32 v181, -0.5, v57
	v_sub_f16_e32 v95, v97, v95
	v_pack_b32_f16 v67, v70, v67
	v_pack_b32_f16 v70, v140, v107
	;; [unrolled: 1-line block ×3, first 2 shown]
	v_fma_f16 v57, -0.5, v60, v111
	v_sub_f16_e32 v60, v62, v53
	v_fma_f16 v59, -0.5, v58, v112
	v_sub_f16_e32 v97, v61, v55
	ds_write_b32 v153, v56 offset:80
	ds_write2_b32 v152, v69, v71 offset1:10
	ds_write_b32 v152, v54 offset:80
	ds_write2_b32 v151, v67, v70 offset1:10
	ds_write_b32 v151, v72 offset:80
	v_pack_b32_f16 v54, v68, v65
	v_pack_b32_f16 v56, v108, v105
	v_pack_b32_f16 v65, v94, v169
	v_pack_b32_f16 v63, v66, v63
	v_pack_b32_f16 v66, v145, v104
	v_fmamk_f16 v150, v95, 0x3aee, v181
	v_pack_b32_f16 v51, v51, v172
	v_fmac_f16_e32 v181, 0xbaee, v95
	v_pack_b32_f16 v64, v64, v99
	v_pack_b32_f16 v67, v109, v103
	v_fmamk_f16 v58, v60, 0xbaee, v57
	v_fmac_f16_e32 v57, 0x3aee, v60
	v_fmamk_f16 v60, v97, 0x3aee, v59
	v_fmac_f16_e32 v59, 0xbaee, v97
	ds_write2_b32 v148, v54, v56 offset1:10
	ds_write_b32 v148, v65 offset:80
	ds_write2_b32 v146, v63, v66 offset1:10
	ds_write_b32 v146, v51 offset:80
	ds_write2_b32 v144, v64, v67 offset1:10
	v_pack_b32_f16 v51, v52, v175
	v_pack_b32_f16 v52, v98, v101
	;; [unrolled: 1-line block ×7, first 2 shown]
	ds_write_b32 v144, v51 offset:80
	ds_write2_b32 v143, v52, v54 offset1:10
	ds_write_b32 v143, v56 offset:80
	ds_write2_b32 v142, v63, v64 offset1:10
	ds_write_b32 v142, v65 offset:80
	s_and_saveexec_b32 s1, s0
	s_cbranch_execz .LBB0_25
; %bb.24:
	v_add_f16_e32 v51, v112, v62
	v_add_f16_e32 v52, v111, v61
	v_mov_b32_e32 v54, 2
	v_add_f16_e32 v51, v51, v53
	v_add_f16_e32 v52, v52, v55
	v_perm_b32 v53, v60, v58, 0x5040100
	v_lshlrev_b32_sdwa v54, v54, v141 dst_sel:DWORD dst_unused:UNUSED_PAD src0_sel:DWORD src1_sel:WORD_0
	v_pack_b32_f16 v51, v52, v51
	v_perm_b32 v52, v59, v57, 0x5040100
	ds_write2_b32 v54, v51, v53 offset1:10
	ds_write_b32 v54, v52 offset:80
.LBB0_25:
	s_or_b32 exec_lo, exec_lo, s1
	v_add_nc_u32_e32 v61, 0x400, v118
	v_add_nc_u32_e32 v62, 0xc00, v118
	;; [unrolled: 1-line block ×3, first 2 shown]
	s_waitcnt lgkmcnt(0)
	s_barrier
	buffer_gl0_inv
	ds_read2_b32 v[53:54], v118 offset1:90
	ds_read2_b32 v[51:52], v61 offset0:104 offset1:194
	ds_read2_b32 v[94:95], v62 offset0:132 offset1:222
	;; [unrolled: 1-line block ×3, first 2 shown]
	v_add_nc_u32_e32 v63, 0x1c00, v118
	v_add_nc_u32_e32 v64, 0x800, v118
	;; [unrolled: 1-line block ×5, first 2 shown]
	ds_read2_b32 v[98:99], v63 offset0:8 offset1:98
	ds_read2_b32 v[100:101], v64 offset0:28 offset1:118
	;; [unrolled: 1-line block ×3, first 2 shown]
	v_add_nc_u32_e32 v66, 0x1e00, v118
	v_add_nc_u32_e32 v70, 0xa00, v118
	;; [unrolled: 1-line block ×3, first 2 shown]
	ds_read2_b32 v[104:105], v67 offset0:56 offset1:146
	ds_read2_b32 v[55:56], v68 offset0:52 offset1:142
	;; [unrolled: 1-line block ×5, first 2 shown]
	ds_read_b32 v116, v118 offset:8640
	s_waitcnt lgkmcnt(0)
	s_barrier
	v_lshrrev_b32_e32 v112, 16, v52
	v_lshrrev_b32_e32 v113, 16, v94
	;; [unrolled: 1-line block ×4, first 2 shown]
	v_mul_f16_sdwa v169, v17, v94 dst_sel:DWORD dst_unused:UNUSED_PAD src0_sel:WORD_1 src1_sel:DWORD
	v_mul_f16_sdwa v151, v16, v112 dst_sel:DWORD dst_unused:UNUSED_PAD src0_sel:WORD_1 src1_sel:DWORD
	;; [unrolled: 1-line block ×4, first 2 shown]
	v_lshrrev_b32_e32 v115, 16, v98
	v_lshrrev_b32_e32 v117, 16, v100
	v_fmac_f16_e32 v151, v16, v52
	v_mul_f16_sdwa v52, v16, v52 dst_sel:DWORD dst_unused:UNUSED_PAD src0_sel:WORD_1 src1_sel:DWORD
	v_lshrrev_b32_e32 v141, 16, v102
	v_mul_f16_sdwa v171, v18, v97 dst_sel:DWORD dst_unused:UNUSED_PAD src0_sel:WORD_1 src1_sel:DWORD
	v_fmac_f16_e32 v168, v17, v94
	v_fma_f16 v17, v17, v113, -v169
	v_fma_f16 v16, v16, v112, -v52
	v_fmac_f16_e32 v170, v18, v97
	v_mul_f16_sdwa v52, v19, v115 dst_sel:DWORD dst_unused:UNUSED_PAD src0_sel:WORD_1 src1_sel:DWORD
	v_mul_f16_sdwa v94, v19, v98 dst_sel:DWORD dst_unused:UNUSED_PAD src0_sel:WORD_1 src1_sel:DWORD
	;; [unrolled: 1-line block ×5, first 2 shown]
	v_lshrrev_b32_e32 v142, 16, v99
	v_lshrrev_b32_e32 v143, 16, v101
	;; [unrolled: 1-line block ×3, first 2 shown]
	v_fmac_f16_e32 v52, v19, v98
	v_fma_f16 v19, v19, v115, -v94
	v_fmac_f16_e32 v97, v8, v100
	v_fma_f16 v94, v8, v117, -v112
	v_fmac_f16_e32 v113, v9, v95
	v_mul_f16_sdwa v8, v9, v95 dst_sel:DWORD dst_unused:UNUSED_PAD src0_sel:WORD_1 src1_sel:DWORD
	v_mul_f16_sdwa v95, v10, v141 dst_sel:DWORD dst_unused:UNUSED_PAD src0_sel:WORD_1 src1_sel:DWORD
	v_lshrrev_b32_e32 v144, 16, v104
	v_lshrrev_b32_e32 v146, 16, v106
	;; [unrolled: 1-line block ×3, first 2 shown]
	v_fma_f16 v18, v18, v114, -v171
	v_mul_f16_sdwa v98, v10, v102 dst_sel:DWORD dst_unused:UNUSED_PAD src0_sel:WORD_1 src1_sel:DWORD
	v_mul_f16_sdwa v100, v11, v142 dst_sel:DWORD dst_unused:UNUSED_PAD src0_sel:WORD_1 src1_sel:DWORD
	;; [unrolled: 1-line block ×3, first 2 shown]
	v_fma_f16 v114, v9, v140, -v8
	v_fmac_f16_e32 v95, v10, v102
	v_mul_f16_sdwa v102, v12, v143 dst_sel:DWORD dst_unused:UNUSED_PAD src0_sel:WORD_1 src1_sel:DWORD
	v_mul_f16_sdwa v8, v12, v101 dst_sel:DWORD dst_unused:UNUSED_PAD src0_sel:WORD_1 src1_sel:DWORD
	;; [unrolled: 1-line block ×3, first 2 shown]
	v_lshrrev_b32_e32 v148, 16, v105
	v_lshrrev_b32_e32 v149, 16, v110
	v_fma_f16 v98, v10, v141, -v98
	v_fmac_f16_e32 v100, v11, v99
	v_fma_f16 v99, v11, v142, -v112
	v_mul_f16_sdwa v112, v13, v144 dst_sel:DWORD dst_unused:UNUSED_PAD src0_sel:WORD_1 src1_sel:DWORD
	v_mul_f16_sdwa v9, v13, v104 dst_sel:DWORD dst_unused:UNUSED_PAD src0_sel:WORD_1 src1_sel:DWORD
	v_fmac_f16_e32 v102, v12, v101
	v_fma_f16 v12, v12, v143, -v8
	v_fmac_f16_e32 v115, v14, v103
	v_mul_f16_sdwa v8, v14, v103 dst_sel:DWORD dst_unused:UNUSED_PAD src0_sel:WORD_1 src1_sel:DWORD
	v_mul_f16_sdwa v101, v15, v146 dst_sel:DWORD dst_unused:UNUSED_PAD src0_sel:WORD_1 src1_sel:DWORD
	v_mul_f16_sdwa v103, v4, v147 dst_sel:DWORD dst_unused:UNUSED_PAD src0_sel:WORD_1 src1_sel:DWORD
	v_mul_f16_sdwa v10, v4, v108 dst_sel:DWORD dst_unused:UNUSED_PAD src0_sel:WORD_1 src1_sel:DWORD
	v_lshrrev_b32_e32 v150, 16, v107
	v_lshrrev_b32_e32 v152, 16, v109
	v_lshrrev_b32_e32 v153, 16, v96
	v_fmac_f16_e32 v112, v13, v104
	v_fma_f16 v13, v13, v144, -v9
	v_mul_f16_sdwa v9, v15, v106 dst_sel:DWORD dst_unused:UNUSED_PAD src0_sel:WORD_1 src1_sel:DWORD
	v_fma_f16 v14, v14, v145, -v8
	v_fmac_f16_e32 v101, v15, v106
	v_fmac_f16_e32 v103, v4, v108
	v_fma_f16 v104, v4, v147, -v10
	v_mul_f16_sdwa v106, v5, v148 dst_sel:DWORD dst_unused:UNUSED_PAD src0_sel:WORD_1 src1_sel:DWORD
	v_mul_f16_sdwa v4, v5, v105 dst_sel:DWORD dst_unused:UNUSED_PAD src0_sel:WORD_1 src1_sel:DWORD
	;; [unrolled: 1-line block ×4, first 2 shown]
	v_fma_f16 v15, v15, v146, -v9
	v_mul_f16_sdwa v117, v7, v150 dst_sel:DWORD dst_unused:UNUSED_PAD src0_sel:WORD_1 src1_sel:DWORD
	v_fmac_f16_e32 v106, v5, v105
	v_fma_f16 v105, v5, v148, -v4
	v_fmac_f16_e32 v108, v6, v110
	v_fma_f16 v110, v6, v149, -v8
	v_mul_f16_sdwa v4, v7, v107 dst_sel:DWORD dst_unused:UNUSED_PAD src0_sel:WORD_1 src1_sel:DWORD
	v_mul_f16_sdwa v8, v0, v152 dst_sel:DWORD dst_unused:UNUSED_PAD src0_sel:WORD_1 src1_sel:DWORD
	;; [unrolled: 1-line block ×5, first 2 shown]
	v_lshrrev_b32_e32 v154, 16, v111
	v_lshrrev_b32_e32 v167, 16, v116
	v_fmac_f16_e32 v117, v7, v107
	v_fma_f16 v107, v7, v150, -v4
	v_fmac_f16_e32 v8, v0, v109
	v_fma_f16 v4, v0, v152, -v6
	;; [unrolled: 2-line block ×3, first 2 shown]
	v_add_f16_e32 v0, v168, v170
	v_mul_f16_sdwa v6, v2, v111 dst_sel:DWORD dst_unused:UNUSED_PAD src0_sel:WORD_1 src1_sel:DWORD
	v_add_f16_e32 v9, v53, v151
	v_mul_f16_sdwa v10, v2, v154 dst_sel:DWORD dst_unused:UNUSED_PAD src0_sel:WORD_1 src1_sel:DWORD
	v_mul_f16_sdwa v96, v3, v167 dst_sel:DWORD dst_unused:UNUSED_PAD src0_sel:WORD_1 src1_sel:DWORD
	v_fma_f16 v0, -0.5, v0, v53
	v_sub_f16_e32 v109, v16, v19
	v_fma_f16 v7, v2, v154, -v6
	v_add_f16_e32 v6, v9, v168
	v_lshrrev_b32_e32 v93, 16, v53
	v_fmac_f16_e32 v10, v2, v111
	v_fmac_f16_e32 v96, v3, v116
	v_fmamk_f16 v2, v109, 0xbb9c, v0
	v_sub_f16_e32 v111, v17, v18
	v_sub_f16_e32 v9, v151, v168
	;; [unrolled: 1-line block ×3, first 2 shown]
	v_add_f16_e32 v140, v151, v52
	v_mul_f16_sdwa v116, v3, v116 dst_sel:DWORD dst_unused:UNUSED_PAD src0_sel:WORD_1 src1_sel:DWORD
	v_add_f16_e32 v141, v6, v170
	v_fmac_f16_e32 v0, 0x3b9c, v109
	v_fmac_f16_e32 v2, 0xb8b4, v111
	v_add_f16_e32 v142, v9, v11
	v_fma_f16 v6, -0.5, v140, v53
	v_fma_f16 v11, v3, v167, -v116
	v_add_f16_e32 v3, v141, v52
	v_sub_f16_e32 v53, v168, v151
	v_sub_f16_e32 v116, v170, v52
	v_fmac_f16_e32 v0, 0x38b4, v111
	v_add_f16_e32 v140, v93, v16
	v_add_f16_e32 v141, v17, v18
	v_fmac_f16_e32 v2, 0x34f2, v142
	v_fmamk_f16 v9, v111, 0x3b9c, v6
	v_add_f16_e32 v53, v53, v116
	v_fmac_f16_e32 v6, 0xbb9c, v111
	v_add_f16_e32 v111, v140, v17
	v_fma_f16 v116, -0.5, v141, v93
	v_sub_f16_e32 v52, v151, v52
	v_fmac_f16_e32 v0, 0x34f2, v142
	v_add_f16_e32 v140, v16, v19
	v_sub_f16_e32 v142, v16, v17
	v_sub_f16_e32 v16, v17, v16
	;; [unrolled: 1-line block ×3, first 2 shown]
	v_fmac_f16_e32 v9, 0xb8b4, v109
	v_fmac_f16_e32 v6, 0x38b4, v109
	v_add_f16_e32 v109, v111, v18
	v_fmamk_f16 v111, v52, 0x3b9c, v116
	v_sub_f16_e32 v141, v168, v170
	v_sub_f16_e32 v143, v19, v18
	v_fmac_f16_e32 v93, -0.5, v140
	v_fmac_f16_e32 v116, 0xbb9c, v52
	v_add_f16_e32 v18, v113, v95
	v_add_f16_e32 v16, v16, v17
	;; [unrolled: 1-line block ×3, first 2 shown]
	v_lshrrev_b32_e32 v91, 16, v54
	v_fmac_f16_e32 v9, 0x34f2, v53
	v_fmac_f16_e32 v6, 0x34f2, v53
	v_add_f16_e32 v53, v109, v19
	v_fmac_f16_e32 v111, 0x38b4, v141
	v_add_f16_e32 v109, v142, v143
	v_fmamk_f16 v140, v141, 0xbb9c, v93
	v_fmac_f16_e32 v116, 0xb8b4, v141
	v_fma_f16 v18, -0.5, v18, v54
	v_sub_f16_e32 v19, v94, v99
	v_fmac_f16_e32 v93, 0x3b9c, v141
	v_add_f16_e32 v17, v17, v113
	v_sub_f16_e32 v142, v97, v113
	v_sub_f16_e32 v143, v100, v95
	v_add_f16_e32 v144, v97, v100
	v_fmac_f16_e32 v111, 0x34f2, v109
	v_fmac_f16_e32 v140, 0x38b4, v52
	;; [unrolled: 1-line block ×3, first 2 shown]
	v_fmamk_f16 v109, v19, 0xbb9c, v18
	v_sub_f16_e32 v141, v114, v98
	v_fmac_f16_e32 v93, 0xb8b4, v52
	v_add_f16_e32 v17, v17, v95
	v_add_f16_e32 v52, v142, v143
	v_fmac_f16_e32 v54, -0.5, v144
	v_fmac_f16_e32 v18, 0x3b9c, v19
	v_sub_f16_e32 v142, v113, v97
	v_sub_f16_e32 v143, v95, v100
	v_add_f16_e32 v144, v91, v94
	v_add_f16_e32 v145, v114, v98
	v_fmac_f16_e32 v140, 0x34f2, v16
	v_fmac_f16_e32 v109, 0xb8b4, v141
	;; [unrolled: 1-line block ×3, first 2 shown]
	v_add_f16_e32 v16, v17, v100
	v_fmamk_f16 v17, v141, 0x3b9c, v54
	v_fmac_f16_e32 v18, 0x38b4, v141
	v_add_f16_e32 v142, v142, v143
	v_fmac_f16_e32 v54, 0xbb9c, v141
	v_add_f16_e32 v141, v144, v114
	v_fma_f16 v143, -0.5, v145, v91
	v_sub_f16_e32 v97, v97, v100
	v_add_f16_e32 v100, v94, v99
	v_fmac_f16_e32 v109, 0x34f2, v52
	v_fmac_f16_e32 v17, 0xb8b4, v19
	;; [unrolled: 1-line block ×4, first 2 shown]
	v_add_f16_e32 v19, v141, v98
	v_fmamk_f16 v52, v97, 0x3b9c, v143
	v_sub_f16_e32 v95, v113, v95
	v_sub_f16_e32 v113, v94, v114
	;; [unrolled: 1-line block ×3, first 2 shown]
	v_fmac_f16_e32 v91, -0.5, v100
	v_fmac_f16_e32 v143, 0xbb9c, v97
	v_sub_f16_e32 v94, v114, v94
	v_sub_f16_e32 v98, v98, v99
	v_fmac_f16_e32 v17, 0x34f2, v142
	v_fmac_f16_e32 v54, 0x34f2, v142
	v_add_f16_e32 v19, v19, v99
	v_fmac_f16_e32 v52, 0x38b4, v95
	v_add_f16_e32 v100, v113, v141
	v_fmamk_f16 v113, v95, 0xbb9c, v91
	v_add_f16_e32 v99, v112, v115
	v_fmac_f16_e32 v143, 0xb8b4, v95
	v_add_f16_e32 v94, v94, v98
	v_add_f16_e32 v98, v55, v102
	v_fmac_f16_e32 v91, 0x3b9c, v95
	v_sub_f16_e32 v141, v102, v112
	v_sub_f16_e32 v142, v101, v115
	v_add_f16_e32 v144, v102, v101
	v_lshrrev_b32_e32 v92, 16, v55
	v_fmac_f16_e32 v52, 0x34f2, v100
	v_fmac_f16_e32 v113, 0x38b4, v97
	v_fma_f16 v99, -0.5, v99, v55
	v_sub_f16_e32 v114, v12, v15
	v_fmac_f16_e32 v143, 0x34f2, v100
	v_add_f16_e32 v95, v98, v112
	v_sub_f16_e32 v100, v13, v14
	v_fmac_f16_e32 v91, 0xb8b4, v97
	v_add_f16_e32 v97, v141, v142
	v_fma_f16 v141, -0.5, v144, v55
	v_fmac_f16_e32 v113, 0x34f2, v94
	v_fmamk_f16 v98, v114, 0xbb9c, v99
	v_add_f16_e32 v95, v95, v115
	v_fmac_f16_e32 v91, 0x34f2, v94
	v_fmac_f16_e32 v99, 0x3b9c, v114
	v_fmamk_f16 v142, v100, 0x3b9c, v141
	v_sub_f16_e32 v55, v112, v102
	v_sub_f16_e32 v94, v115, v101
	v_add_f16_e32 v144, v92, v12
	v_add_f16_e32 v145, v13, v14
	v_fmac_f16_e32 v141, 0xbb9c, v100
	v_fmac_f16_e32 v98, 0xb8b4, v100
	v_add_f16_e32 v95, v95, v101
	v_fmac_f16_e32 v99, 0x38b4, v100
	v_fmac_f16_e32 v142, 0xb8b4, v114
	v_add_f16_e32 v55, v55, v94
	v_add_f16_e32 v94, v144, v13
	v_fma_f16 v100, -0.5, v145, v92
	v_sub_f16_e32 v101, v102, v101
	v_fmac_f16_e32 v141, 0x38b4, v114
	v_add_f16_e32 v102, v12, v15
	v_sub_f16_e32 v114, v12, v13
	v_sub_f16_e32 v12, v13, v12
	v_sub_f16_e32 v13, v14, v15
	v_fmac_f16_e32 v98, 0x34f2, v97
	v_fmac_f16_e32 v99, 0x34f2, v97
	v_add_f16_e32 v94, v94, v14
	v_fmamk_f16 v97, v101, 0x3b9c, v100
	v_sub_f16_e32 v112, v112, v115
	v_sub_f16_e32 v115, v15, v14
	v_fmac_f16_e32 v92, -0.5, v102
	v_fmac_f16_e32 v100, 0xbb9c, v101
	v_add_f16_e32 v14, v106, v108
	v_add_f16_e32 v12, v12, v13
	v_add_f16_e32 v13, v56, v103
	v_lshrrev_b32_e32 v72, 16, v56
	v_fmac_f16_e32 v142, 0x34f2, v55
	v_fmac_f16_e32 v141, 0x34f2, v55
	v_add_f16_e32 v102, v94, v15
	v_fmac_f16_e32 v97, 0x38b4, v112
	v_add_f16_e32 v55, v114, v115
	v_fmamk_f16 v114, v112, 0xbb9c, v92
	v_fmac_f16_e32 v100, 0xb8b4, v112
	v_fma_f16 v14, -0.5, v14, v56
	v_sub_f16_e32 v15, v104, v107
	v_fmac_f16_e32 v92, 0x3b9c, v112
	v_add_f16_e32 v13, v13, v106
	v_add_f16_e32 v144, v103, v117
	v_fmac_f16_e32 v97, 0x34f2, v55
	v_fmac_f16_e32 v114, 0x38b4, v101
	;; [unrolled: 1-line block ×3, first 2 shown]
	v_fmamk_f16 v112, v15, 0xbb9c, v14
	v_sub_f16_e32 v55, v105, v110
	v_sub_f16_e32 v94, v103, v106
	;; [unrolled: 1-line block ×3, first 2 shown]
	v_fmac_f16_e32 v92, 0xb8b4, v101
	v_add_f16_e32 v13, v13, v108
	v_fmac_f16_e32 v56, -0.5, v144
	v_fmac_f16_e32 v14, 0x3b9c, v15
	v_add_f16_e32 v144, v72, v104
	v_fmac_f16_e32 v114, 0x34f2, v12
	v_fmac_f16_e32 v112, 0xb8b4, v55
	v_add_f16_e32 v94, v94, v115
	v_fmac_f16_e32 v92, 0x34f2, v12
	v_add_f16_e32 v12, v13, v117
	v_fmamk_f16 v13, v55, 0x3b9c, v56
	v_sub_f16_e32 v101, v106, v103
	v_sub_f16_e32 v115, v108, v117
	v_fmac_f16_e32 v14, 0x38b4, v55
	v_add_f16_e32 v145, v105, v110
	v_fmac_f16_e32 v56, 0xbb9c, v55
	v_add_f16_e32 v55, v144, v105
	;; [unrolled: 2-line block ×3, first 2 shown]
	v_fma_f16 v115, -0.5, v145, v72
	v_sub_f16_e32 v103, v103, v117
	v_fmac_f16_e32 v56, 0x38b4, v15
	v_add_f16_e32 v15, v55, v110
	v_add_f16_e32 v55, v104, v107
	v_fmac_f16_e32 v112, 0x34f2, v94
	v_fmac_f16_e32 v14, 0x34f2, v94
	v_fmamk_f16 v117, v103, 0x3b9c, v115
	v_sub_f16_e32 v94, v106, v108
	v_sub_f16_e32 v106, v104, v105
	;; [unrolled: 1-line block ×3, first 2 shown]
	v_fmac_f16_e32 v72, -0.5, v55
	v_fmac_f16_e32 v115, 0xbb9c, v103
	v_sub_f16_e32 v55, v105, v104
	v_sub_f16_e32 v104, v110, v107
	v_add_f16_e32 v105, v5, v10
	v_fmac_f16_e32 v13, 0x34f2, v101
	v_fmac_f16_e32 v56, 0x34f2, v101
	;; [unrolled: 1-line block ×3, first 2 shown]
	v_add_f16_e32 v101, v106, v108
	v_fmamk_f16 v106, v94, 0xbb9c, v72
	v_fmac_f16_e32 v115, 0xb8b4, v94
	v_add_f16_e32 v104, v55, v104
	v_fmac_f16_e32 v72, 0x3b9c, v94
	v_add_f16_e32 v94, v51, v8
	v_fma_f16 v55, -0.5, v105, v51
	v_sub_f16_e32 v105, v4, v11
	v_add_f16_e32 v15, v15, v107
	v_fmac_f16_e32 v117, 0x34f2, v101
	v_fmac_f16_e32 v106, 0x38b4, v103
	;; [unrolled: 1-line block ×4, first 2 shown]
	v_add_f16_e32 v94, v94, v5
	v_fmamk_f16 v101, v105, 0xbb9c, v55
	v_sub_f16_e32 v103, v1, v7
	v_sub_f16_e32 v107, v8, v5
	;; [unrolled: 1-line block ×3, first 2 shown]
	v_fmac_f16_e32 v55, 0x3b9c, v105
	v_add_f16_e32 v110, v8, v96
	v_lshrrev_b32_e32 v71, 16, v51
	v_add_f16_e32 v94, v94, v10
	v_fmac_f16_e32 v101, 0xb8b4, v103
	v_add_f16_e32 v107, v107, v108
	v_fmac_f16_e32 v55, 0x38b4, v103
	v_fmac_f16_e32 v51, -0.5, v110
	v_sub_f16_e32 v108, v5, v8
	v_sub_f16_e32 v110, v10, v96
	v_fmac_f16_e32 v106, 0x34f2, v104
	v_fmac_f16_e32 v72, 0x34f2, v104
	v_add_f16_e32 v104, v94, v96
	v_fmac_f16_e32 v101, 0x34f2, v107
	v_fmac_f16_e32 v55, 0x34f2, v107
	v_fmamk_f16 v107, v103, 0x3b9c, v51
	v_add_f16_e32 v94, v1, v7
	v_fmac_f16_e32 v51, 0xbb9c, v103
	v_sub_f16_e32 v8, v8, v96
	v_add_f16_e32 v96, v108, v110
	v_add_f16_e32 v108, v4, v11
	v_add_f16_e32 v103, v71, v4
	v_fma_f16 v94, -0.5, v94, v71
	v_fmac_f16_e32 v107, 0xb8b4, v105
	v_fmac_f16_e32 v51, 0x38b4, v105
	v_sub_f16_e32 v5, v5, v10
	v_fmac_f16_e32 v71, -0.5, v108
	v_add_f16_e32 v103, v103, v1
	v_fmac_f16_e32 v107, 0x34f2, v96
	v_fmac_f16_e32 v51, 0x34f2, v96
	v_sub_f16_e32 v96, v4, v1
	v_fmamk_f16 v108, v5, 0xbb9c, v71
	v_sub_f16_e32 v1, v1, v4
	v_sub_f16_e32 v4, v7, v11
	v_fmac_f16_e32 v71, 0x3b9c, v5
	v_fmamk_f16 v105, v8, 0x3b9c, v94
	v_add_f16_e32 v10, v103, v7
	v_sub_f16_e32 v103, v11, v7
	v_fmac_f16_e32 v94, 0xbb9c, v8
	v_fmac_f16_e32 v108, 0x38b4, v8
	v_add_f16_e32 v1, v1, v4
	v_fmac_f16_e32 v71, 0xb8b4, v8
	v_fmac_f16_e32 v105, 0x38b4, v5
	v_add_f16_e32 v7, v96, v103
	v_fmac_f16_e32 v94, 0xb8b4, v5
	v_fmac_f16_e32 v108, 0x34f2, v1
	;; [unrolled: 1-line block ×3, first 2 shown]
	v_pack_b32_f16 v1, v3, v53
	v_pack_b32_f16 v2, v2, v111
	;; [unrolled: 1-line block ×5, first 2 shown]
	v_fmac_f16_e32 v105, 0x34f2, v7
	v_fmac_f16_e32 v94, 0x34f2, v7
	v_pack_b32_f16 v6, v16, v19
	v_pack_b32_f16 v7, v109, v52
	;; [unrolled: 1-line block ×4, first 2 shown]
	buffer_gl0_inv
	ds_write2_b32 v156, v1, v2 offset1:30
	ds_write2_b32 v156, v3, v5 offset0:60 offset1:90
	ds_write_b32 v156, v0 offset:480
	ds_write2_b32 v157, v6, v7 offset1:30
	ds_write2_b32 v157, v8, v9 offset0:60 offset1:90
	v_pack_b32_f16 v0, v18, v143
	v_pack_b32_f16 v1, v95, v102
	;; [unrolled: 1-line block ×3, first 2 shown]
	v_add_f16_e32 v4, v10, v11
	v_pack_b32_f16 v3, v142, v114
	v_pack_b32_f16 v5, v141, v92
	;; [unrolled: 1-line block ×5, first 2 shown]
	ds_write_b32 v157, v0 offset:480
	ds_write2_b32 v159, v1, v2 offset1:30
	ds_write2_b32 v159, v3, v5 offset0:60 offset1:90
	ds_write_b32 v159, v6 offset:480
	ds_write2_b32 v158, v7, v8 offset1:30
	v_pack_b32_f16 v0, v13, v106
	v_pack_b32_f16 v1, v56, v72
	;; [unrolled: 1-line block ×8, first 2 shown]
	ds_write2_b32 v158, v0, v1 offset0:60 offset1:90
	ds_write_b32 v158, v2 offset:480
	ds_write2_b32 v160, v3, v4 offset1:30
	ds_write2_b32 v160, v5, v6 offset0:60 offset1:90
	ds_write_b32 v160, v7 offset:480
	v_add_nc_u32_e32 v0, 0x1600, v118
	s_waitcnt lgkmcnt(0)
	s_barrier
	buffer_gl0_inv
	ds_read2_b32 v[6:7], v118 offset1:90
	ds_read2_b32 v[53:54], v70 offset0:110 offset1:200
	ds_read2_b32 v[51:52], v0 offset0:92 offset1:182
	;; [unrolled: 1-line block ×11, first 2 shown]
	s_and_saveexec_b32 s1, s0
	s_cbranch_execz .LBB0_27
; %bb.26:
	ds_read_b32 v55, v118 offset:2880
	ds_read_b32 v58, v118 offset:5880
	;; [unrolled: 1-line block ×3, first 2 shown]
	s_waitcnt lgkmcnt(2)
	v_lshrrev_b32_e32 v94, 16, v55
	s_waitcnt lgkmcnt(1)
	v_lshrrev_b32_e32 v60, 16, v58
	;; [unrolled: 2-line block ×3, first 2 shown]
.LBB0_27:
	s_or_b32 exec_lo, exec_lo, s1
	s_waitcnt lgkmcnt(10)
	v_lshrrev_b32_e32 v61, 16, v53
	s_waitcnt lgkmcnt(9)
	v_lshrrev_b32_e32 v62, 16, v51
	v_lshrrev_b32_e32 v64, 16, v54
	;; [unrolled: 1-line block ×3, first 2 shown]
	v_mul_f16_sdwa v103, v85, v53 dst_sel:DWORD dst_unused:UNUSED_PAD src0_sel:WORD_1 src1_sel:DWORD
	v_mul_f16_sdwa v101, v85, v61 dst_sel:DWORD dst_unused:UNUSED_PAD src0_sel:WORD_1 src1_sel:DWORD
	;; [unrolled: 1-line block ×3, first 2 shown]
	s_waitcnt lgkmcnt(7)
	v_lshrrev_b32_e32 v67, 16, v18
	s_waitcnt lgkmcnt(6)
	v_lshrrev_b32_e32 v68, 16, v16
	v_fma_f16 v61, v85, v61, -v103
	v_fmac_f16_e32 v101, v85, v53
	v_mul_f16_sdwa v53, v86, v51 dst_sel:DWORD dst_unused:UNUSED_PAD src0_sel:WORD_1 src1_sel:DWORD
	v_mul_f16_sdwa v85, v87, v64 dst_sel:DWORD dst_unused:UNUSED_PAD src0_sel:WORD_1 src1_sel:DWORD
	v_fmac_f16_e32 v105, v86, v51
	v_mul_f16_sdwa v51, v87, v54 dst_sel:DWORD dst_unused:UNUSED_PAD src0_sel:WORD_1 src1_sel:DWORD
	v_lshrrev_b32_e32 v70, 16, v19
	v_fma_f16 v53, v86, v62, -v53
	v_mul_f16_sdwa v62, v88, v65 dst_sel:DWORD dst_unused:UNUSED_PAD src0_sel:WORD_1 src1_sel:DWORD
	v_fmac_f16_e32 v85, v87, v54
	v_mul_f16_sdwa v54, v88, v52 dst_sel:DWORD dst_unused:UNUSED_PAD src0_sel:WORD_1 src1_sel:DWORD
	v_fma_f16 v51, v87, v64, -v51
	v_mul_f16_sdwa v64, v81, v67 dst_sel:DWORD dst_unused:UNUSED_PAD src0_sel:WORD_1 src1_sel:DWORD
	v_fmac_f16_e32 v62, v88, v52
	v_mul_f16_sdwa v52, v81, v18 dst_sel:DWORD dst_unused:UNUSED_PAD src0_sel:WORD_1 src1_sel:DWORD
	v_lshrrev_b32_e32 v71, 16, v17
	v_fma_f16 v54, v88, v65, -v54
	v_mul_f16_sdwa v65, v82, v68 dst_sel:DWORD dst_unused:UNUSED_PAD src0_sel:WORD_1 src1_sel:DWORD
	v_fmac_f16_e32 v64, v81, v18
	v_mul_f16_sdwa v18, v82, v16 dst_sel:DWORD dst_unused:UNUSED_PAD src0_sel:WORD_1 src1_sel:DWORD
	v_fma_f16 v52, v81, v67, -v52
	v_mul_f16_sdwa v67, v75, v70 dst_sel:DWORD dst_unused:UNUSED_PAD src0_sel:WORD_1 src1_sel:DWORD
	s_waitcnt lgkmcnt(4)
	v_lshrrev_b32_e32 v91, 16, v14
	s_waitcnt lgkmcnt(3)
	v_lshrrev_b32_e32 v92, 16, v12
	v_lshrrev_b32_e32 v95, 16, v15
	;; [unrolled: 1-line block ×3, first 2 shown]
	v_fmac_f16_e32 v65, v82, v16
	v_mul_f16_sdwa v16, v75, v19 dst_sel:DWORD dst_unused:UNUSED_PAD src0_sel:WORD_1 src1_sel:DWORD
	v_fma_f16 v18, v82, v68, -v18
	v_mul_f16_sdwa v68, v76, v71 dst_sel:DWORD dst_unused:UNUSED_PAD src0_sel:WORD_1 src1_sel:DWORD
	v_fmac_f16_e32 v67, v75, v19
	v_mul_f16_sdwa v19, v76, v17 dst_sel:DWORD dst_unused:UNUSED_PAD src0_sel:WORD_1 src1_sel:DWORD
	s_waitcnt lgkmcnt(1)
	v_lshrrev_b32_e32 v98, 16, v10
	s_waitcnt lgkmcnt(0)
	v_lshrrev_b32_e32 v99, 16, v8
	v_fma_f16 v16, v75, v70, -v16
	v_mul_f16_sdwa v70, v89, v91 dst_sel:DWORD dst_unused:UNUSED_PAD src0_sel:WORD_1 src1_sel:DWORD
	v_fmac_f16_e32 v68, v76, v17
	v_fma_f16 v19, v76, v71, -v19
	v_mul_f16_sdwa v71, v90, v92 dst_sel:DWORD dst_unused:UNUSED_PAD src0_sel:WORD_1 src1_sel:DWORD
	v_mul_f16_sdwa v75, v83, v95 dst_sel:DWORD dst_unused:UNUSED_PAD src0_sel:WORD_1 src1_sel:DWORD
	;; [unrolled: 1-line block ×3, first 2 shown]
	v_lshrrev_b32_e32 v102, 16, v11
	v_mul_f16_sdwa v17, v89, v14 dst_sel:DWORD dst_unused:UNUSED_PAD src0_sel:WORD_1 src1_sel:DWORD
	v_fmac_f16_e32 v70, v89, v14
	v_mul_f16_sdwa v14, v90, v12 dst_sel:DWORD dst_unused:UNUSED_PAD src0_sel:WORD_1 src1_sel:DWORD
	v_fmac_f16_e32 v71, v90, v12
	v_mul_f16_sdwa v12, v83, v15 dst_sel:DWORD dst_unused:UNUSED_PAD src0_sel:WORD_1 src1_sel:DWORD
	v_fmac_f16_e32 v75, v83, v15
	v_mul_f16_sdwa v15, v84, v13 dst_sel:DWORD dst_unused:UNUSED_PAD src0_sel:WORD_1 src1_sel:DWORD
	v_mul_f16_sdwa v81, v79, v98 dst_sel:DWORD dst_unused:UNUSED_PAD src0_sel:WORD_1 src1_sel:DWORD
	v_fmac_f16_e32 v76, v84, v13
	v_mul_f16_sdwa v13, v79, v10 dst_sel:DWORD dst_unused:UNUSED_PAD src0_sel:WORD_1 src1_sel:DWORD
	v_mul_f16_sdwa v82, v80, v99 dst_sel:DWORD dst_unused:UNUSED_PAD src0_sel:WORD_1 src1_sel:DWORD
	v_lshrrev_b32_e32 v104, 16, v9
	v_fmac_f16_e32 v81, v79, v10
	v_mul_f16_sdwa v10, v80, v8 dst_sel:DWORD dst_unused:UNUSED_PAD src0_sel:WORD_1 src1_sel:DWORD
	v_fma_f16 v13, v79, v98, -v13
	v_mul_f16_sdwa v79, v77, v102 dst_sel:DWORD dst_unused:UNUSED_PAD src0_sel:WORD_1 src1_sel:DWORD
	v_fmac_f16_e32 v82, v80, v8
	v_mul_f16_sdwa v8, v77, v11 dst_sel:DWORD dst_unused:UNUSED_PAD src0_sel:WORD_1 src1_sel:DWORD
	v_lshrrev_b32_e32 v56, 16, v6
	v_fma_f16 v10, v80, v99, -v10
	v_mul_f16_sdwa v80, v78, v104 dst_sel:DWORD dst_unused:UNUSED_PAD src0_sel:WORD_1 src1_sel:DWORD
	v_fmac_f16_e32 v79, v77, v11
	v_mul_f16_sdwa v11, v78, v9 dst_sel:DWORD dst_unused:UNUSED_PAD src0_sel:WORD_1 src1_sel:DWORD
	v_fma_f16 v8, v77, v102, -v8
	v_add_f16_e32 v77, v101, v105
	v_fmac_f16_e32 v80, v78, v9
	v_add_f16_e32 v9, v6, v101
	v_fma_f16 v11, v78, v104, -v11
	v_add_f16_e32 v78, v61, v53
	v_fma_f16 v6, -0.5, v77, v6
	v_sub_f16_e32 v77, v61, v53
	v_add_f16_e32 v61, v56, v61
	v_lshrrev_b32_e32 v63, 16, v7
	v_fmac_f16_e32 v56, -0.5, v78
	v_sub_f16_e32 v78, v101, v105
	v_fma_f16 v12, v83, v95, -v12
	v_add_f16_e32 v53, v61, v53
	v_add_f16_e32 v61, v85, v62
	v_fma_f16 v15, v84, v96, -v15
	v_fmamk_f16 v83, v77, 0xbaee, v6
	v_fmac_f16_e32 v6, 0x3aee, v77
	v_fmamk_f16 v77, v78, 0x3aee, v56
	v_add_f16_e32 v84, v7, v85
	v_fmac_f16_e32 v56, 0xbaee, v78
	v_add_f16_e32 v78, v51, v54
	v_fmac_f16_e32 v7, -0.5, v61
	v_sub_f16_e32 v61, v51, v54
	v_add_f16_e32 v51, v63, v51
	v_lshrrev_b32_e32 v66, 16, v4
	v_add_f16_e32 v84, v84, v62
	v_fmac_f16_e32 v63, -0.5, v78
	v_sub_f16_e32 v62, v85, v62
	v_add_f16_e32 v51, v51, v54
	v_add_f16_e32 v54, v64, v65
	v_fmamk_f16 v78, v61, 0xbaee, v7
	v_fmac_f16_e32 v7, 0x3aee, v61
	v_fmamk_f16 v61, v62, 0x3aee, v63
	v_add_f16_e32 v85, v4, v64
	v_fmac_f16_e32 v63, 0xbaee, v62
	v_add_f16_e32 v62, v52, v18
	v_fma_f16 v4, -0.5, v54, v4
	v_sub_f16_e32 v54, v52, v18
	v_add_f16_e32 v52, v66, v52
	v_lshrrev_b32_e32 v69, 16, v5
	v_fmac_f16_e32 v66, -0.5, v62
	v_sub_f16_e32 v62, v64, v65
	v_add_f16_e32 v85, v85, v65
	v_add_f16_e32 v18, v52, v18
	;; [unrolled: 1-line block ×3, first 2 shown]
	v_fmamk_f16 v64, v54, 0xbaee, v4
	v_fmac_f16_e32 v4, 0x3aee, v54
	v_fmamk_f16 v54, v62, 0x3aee, v66
	v_add_f16_e32 v65, v5, v67
	v_fmac_f16_e32 v66, 0xbaee, v62
	v_add_f16_e32 v62, v16, v19
	v_fmac_f16_e32 v5, -0.5, v52
	v_sub_f16_e32 v52, v16, v19
	v_add_f16_e32 v16, v69, v16
	v_lshrrev_b32_e32 v72, 16, v2
	v_fma_f16 v17, v89, v91, -v17
	v_fma_f16 v14, v90, v92, -v14
	v_fmac_f16_e32 v69, -0.5, v62
	v_sub_f16_e32 v62, v67, v68
	v_add_f16_e32 v16, v16, v19
	v_add_f16_e32 v19, v70, v71
	;; [unrolled: 1-line block ×3, first 2 shown]
	v_fmamk_f16 v67, v52, 0xbaee, v5
	v_fmac_f16_e32 v5, 0x3aee, v52
	v_fmamk_f16 v52, v62, 0x3aee, v69
	v_add_f16_e32 v68, v2, v70
	v_fmac_f16_e32 v69, 0xbaee, v62
	v_add_f16_e32 v62, v17, v14
	v_fma_f16 v2, -0.5, v19, v2
	v_sub_f16_e32 v19, v17, v14
	v_add_f16_e32 v17, v72, v17
	v_lshrrev_b32_e32 v93, 16, v3
	v_fmac_f16_e32 v72, -0.5, v62
	v_sub_f16_e32 v62, v70, v71
	v_add_f16_e32 v68, v68, v71
	v_add_f16_e32 v14, v17, v14
	;; [unrolled: 1-line block ×3, first 2 shown]
	v_fmamk_f16 v70, v19, 0xbaee, v2
	v_fmac_f16_e32 v2, 0x3aee, v19
	v_fmamk_f16 v19, v62, 0x3aee, v72
	v_add_f16_e32 v71, v3, v75
	v_fmac_f16_e32 v72, 0xbaee, v62
	v_add_f16_e32 v62, v12, v15
	v_fmac_f16_e32 v3, -0.5, v17
	v_sub_f16_e32 v17, v12, v15
	v_add_f16_e32 v12, v93, v12
	v_lshrrev_b32_e32 v97, 16, v0
	v_fmac_f16_e32 v93, -0.5, v62
	v_sub_f16_e32 v62, v75, v76
	v_add_f16_e32 v71, v71, v76
	v_add_f16_e32 v12, v12, v15
	;; [unrolled: 1-line block ×3, first 2 shown]
	v_fmamk_f16 v75, v17, 0xbaee, v3
	v_fmac_f16_e32 v3, 0x3aee, v17
	v_fmamk_f16 v17, v62, 0x3aee, v93
	v_add_f16_e32 v76, v0, v81
	v_fmac_f16_e32 v93, 0xbaee, v62
	v_add_f16_e32 v62, v13, v10
	v_fma_f16 v0, -0.5, v15, v0
	v_sub_f16_e32 v15, v13, v10
	v_add_f16_e32 v13, v97, v13
	v_lshrrev_b32_e32 v100, 16, v1
	v_fmac_f16_e32 v97, -0.5, v62
	v_sub_f16_e32 v62, v81, v82
	v_add_f16_e32 v9, v9, v105
	v_add_f16_e32 v10, v13, v10
	;; [unrolled: 1-line block ×4, first 2 shown]
	v_fmamk_f16 v81, v15, 0xbaee, v0
	v_fmac_f16_e32 v0, 0x3aee, v15
	v_fmamk_f16 v15, v62, 0x3aee, v97
	v_fmac_f16_e32 v97, 0xbaee, v62
	v_add_f16_e32 v62, v8, v11
	v_add_f16_e32 v82, v1, v79
	v_fmac_f16_e32 v1, -0.5, v13
	v_sub_f16_e32 v13, v8, v11
	v_add_f16_e32 v8, v100, v8
	v_fmac_f16_e32 v100, -0.5, v62
	v_sub_f16_e32 v62, v79, v80
	v_add_f16_e32 v79, v82, v80
	v_fmamk_f16 v80, v13, 0xbaee, v1
	v_fmac_f16_e32 v1, 0x3aee, v13
	v_pack_b32_f16 v9, v9, v53
	v_pack_b32_f16 v13, v83, v77
	;; [unrolled: 1-line block ×3, first 2 shown]
	s_barrier
	buffer_gl0_inv
	ds_write2_b32 v118, v9, v13 offset1:150
	v_pack_b32_f16 v9, v84, v51
	v_pack_b32_f16 v13, v78, v61
	;; [unrolled: 1-line block ×5, first 2 shown]
	v_add_nc_u32_e32 v7, 0x600, v118
	v_pack_b32_f16 v4, v4, v66
	ds_write_b32 v118, v6 offset:1200
	ds_write2_b32 v165, v9, v13 offset1:150
	ds_write_b32 v165, v51 offset:1200
	ds_write2_b32 v7, v18, v53 offset0:96 offset1:246
	ds_write_b32 v118, v4 offset:3120
	v_pack_b32_f16 v4, v65, v16
	v_pack_b32_f16 v6, v67, v52
	;; [unrolled: 1-line block ×5, first 2 shown]
	v_add_nc_u32_e32 v14, 0xe00, v162
	v_add_f16_e32 v8, v8, v11
	v_fmamk_f16 v11, v62, 0x3aee, v100
	v_pack_b32_f16 v2, v2, v72
	v_fmac_f16_e32 v100, 0xbaee, v62
	v_pack_b32_f16 v12, v71, v12
	v_pack_b32_f16 v16, v75, v17
	v_add_nc_u32_e32 v17, 0x1400, v161
	ds_write2_b32 v166, v4, v6 offset1:150
	ds_write_b32 v166, v5 offset:1200
	ds_write2_b32 v14, v9, v13 offset0:4 offset1:154
	ds_write_b32 v162, v2 offset:4800
	ds_write2_b32 v17, v12, v16 offset0:70 offset1:220
	v_pack_b32_f16 v2, v3, v93
	v_pack_b32_f16 v3, v76, v10
	;; [unrolled: 1-line block ×6, first 2 shown]
	v_add_nc_u32_e32 v8, 0x1c00, v163
	v_pack_b32_f16 v1, v1, v100
	ds_write_b32 v161, v2 offset:6600
	ds_write2_b32 v164, v3, v4 offset1:150
	ds_write_b32 v164, v0 offset:1200
	ds_write2_b32 v8, v5, v6 offset0:8 offset1:158
	ds_write_b32 v163, v1 offset:8400
	s_and_saveexec_b32 s1, s0
	s_cbranch_execz .LBB0_29
; %bb.28:
	v_mul_f16_sdwa v0, v73, v58 dst_sel:DWORD dst_unused:UNUSED_PAD src0_sel:WORD_1 src1_sel:DWORD
	v_mul_f16_sdwa v1, v74, v57 dst_sel:DWORD dst_unused:UNUSED_PAD src0_sel:WORD_1 src1_sel:DWORD
	;; [unrolled: 1-line block ×4, first 2 shown]
	v_mov_b32_e32 v5, 2
	v_fma_f16 v0, v73, v60, -v0
	v_fma_f16 v1, v74, v59, -v1
	v_fmac_f16_e32 v2, v73, v58
	v_fmac_f16_e32 v3, v74, v57
	v_add_f16_e32 v9, v94, v0
	v_add_f16_e32 v4, v0, v1
	v_sub_f16_e32 v0, v0, v1
	v_add_f16_e32 v6, v2, v3
	v_sub_f16_e32 v8, v2, v3
	v_add_f16_e32 v2, v55, v2
	v_fma_f16 v4, -0.5, v4, v94
	v_add_f16_e32 v1, v9, v1
	v_fma_f16 v6, -0.5, v6, v55
	v_add_f16_e32 v2, v2, v3
	v_fmamk_f16 v9, v8, 0xbaee, v4
	v_fmac_f16_e32 v4, 0x3aee, v8
	v_fmamk_f16 v8, v0, 0x3aee, v6
	v_fmac_f16_e32 v6, 0xbaee, v0
	v_lshlrev_b32_sdwa v0, v5, v155 dst_sel:DWORD dst_unused:UNUSED_PAD src0_sel:DWORD src1_sel:WORD_0
	v_pack_b32_f16 v1, v2, v1
	v_pack_b32_f16 v2, v6, v4
	v_add_nc_u32_e32 v3, 0x1c00, v0
	v_pack_b32_f16 v4, v8, v9
	ds_write2_b32 v3, v1, v2 offset0:8 offset1:158
	ds_write_b32 v0, v4 offset:8400
.LBB0_29:
	s_or_b32 exec_lo, exec_lo, s1
	v_add_nc_u32_e32 v0, 0x400, v118
	v_add_nc_u32_e32 v12, 0xc00, v118
	;; [unrolled: 1-line block ×3, first 2 shown]
	s_waitcnt lgkmcnt(0)
	s_barrier
	buffer_gl0_inv
	ds_read2_b32 v[2:3], v118 offset1:90
	ds_read2_b32 v[0:1], v0 offset0:104 offset1:194
	ds_read2_b32 v[52:53], v12 offset0:132 offset1:222
	;; [unrolled: 1-line block ×3, first 2 shown]
	v_add_nc_u32_e32 v6, 0x1c00, v118
	v_add_nc_u32_e32 v16, 0x800, v118
	;; [unrolled: 1-line block ×5, first 2 shown]
	ds_read2_b32 v[56:57], v6 offset0:8 offset1:98
	ds_read2_b32 v[58:59], v16 offset0:28 offset1:118
	;; [unrolled: 1-line block ×3, first 2 shown]
	v_add_nc_u32_e32 v13, 0x1e00, v118
	v_add_nc_u32_e32 v14, 0xa00, v118
	;; [unrolled: 1-line block ×3, first 2 shown]
	ds_read2_b32 v[62:63], v10 offset0:56 offset1:146
	ds_read2_b32 v[4:5], v8 offset0:52 offset1:142
	ds_read2_b32 v[64:65], v13 offset0:60 offset1:150
	ds_read2_b32 v[66:67], v14 offset0:80 offset1:170
	ds_read2_b32 v[68:69], v11 offset0:84 offset1:174
	ds_read_b32 v74, v118 offset:8640
	s_mov_b32 s4, 0x5a912e32
	s_mov_b32 s5, 0x3f3d208a
	s_waitcnt lgkmcnt(11)
	v_lshrrev_b32_e32 v70, 16, v1
	s_waitcnt lgkmcnt(10)
	v_lshrrev_b32_e32 v71, 16, v52
	;; [unrolled: 2-line block ×3, first 2 shown]
	v_mul_f16_sdwa v93, v25, v52 dst_sel:DWORD dst_unused:UNUSED_PAD src0_sel:WORD_1 src1_sel:DWORD
	v_lshrrev_b32_e32 v76, 16, v53
	v_mul_f16_sdwa v87, v24, v70 dst_sel:DWORD dst_unused:UNUSED_PAD src0_sel:WORD_1 src1_sel:DWORD
	v_mul_f16_sdwa v92, v25, v71 dst_sel:DWORD dst_unused:UNUSED_PAD src0_sel:WORD_1 src1_sel:DWORD
	;; [unrolled: 1-line block ×3, first 2 shown]
	s_waitcnt lgkmcnt(8)
	v_lshrrev_b32_e32 v73, 16, v56
	s_waitcnt lgkmcnt(7)
	v_lshrrev_b32_e32 v75, 16, v58
	v_fmac_f16_e32 v87, v24, v1
	v_mul_f16_sdwa v1, v24, v1 dst_sel:DWORD dst_unused:UNUSED_PAD src0_sel:WORD_1 src1_sel:DWORD
	v_mul_f16_sdwa v95, v26, v55 dst_sel:DWORD dst_unused:UNUSED_PAD src0_sel:WORD_1 src1_sel:DWORD
	v_fmac_f16_e32 v92, v25, v52
	v_fma_f16 v52, v25, v71, -v93
	v_mul_f16_sdwa v71, v27, v73 dst_sel:DWORD dst_unused:UNUSED_PAD src0_sel:WORD_1 src1_sel:DWORD
	v_fma_f16 v70, v24, v70, -v1
	v_mul_f16_sdwa v1, v27, v56 dst_sel:DWORD dst_unused:UNUSED_PAD src0_sel:WORD_1 src1_sel:DWORD
	s_waitcnt lgkmcnt(6)
	v_lshrrev_b32_e32 v77, 16, v60
	v_lshrrev_b32_e32 v78, 16, v57
	;; [unrolled: 1-line block ×3, first 2 shown]
	v_fmac_f16_e32 v94, v26, v55
	v_fma_f16 v55, v26, v72, -v95
	v_mul_f16_sdwa v72, v20, v75 dst_sel:DWORD dst_unused:UNUSED_PAD src0_sel:WORD_1 src1_sel:DWORD
	v_mul_f16_sdwa v24, v20, v58 dst_sel:DWORD dst_unused:UNUSED_PAD src0_sel:WORD_1 src1_sel:DWORD
	;; [unrolled: 1-line block ×3, first 2 shown]
	v_fmac_f16_e32 v71, v27, v56
	v_fma_f16 v56, v27, v73, -v1
	v_mul_f16_sdwa v1, v21, v53 dst_sel:DWORD dst_unused:UNUSED_PAD src0_sel:WORD_1 src1_sel:DWORD
	s_waitcnt lgkmcnt(5)
	v_lshrrev_b32_e32 v80, 16, v62
	v_lshrrev_b32_e32 v81, 16, v61
	s_waitcnt lgkmcnt(3)
	v_lshrrev_b32_e32 v82, 16, v64
	v_fmac_f16_e32 v72, v20, v58
	v_fma_f16 v58, v20, v75, -v24
	v_fmac_f16_e32 v93, v21, v53
	v_mul_f16_sdwa v53, v22, v77 dst_sel:DWORD dst_unused:UNUSED_PAD src0_sel:WORD_1 src1_sel:DWORD
	v_mul_f16_sdwa v20, v22, v60 dst_sel:DWORD dst_unused:UNUSED_PAD src0_sel:WORD_1 src1_sel:DWORD
	v_mul_f16_sdwa v73, v23, v78 dst_sel:DWORD dst_unused:UNUSED_PAD src0_sel:WORD_1 src1_sel:DWORD
	v_mul_f16_sdwa v24, v23, v57 dst_sel:DWORD dst_unused:UNUSED_PAD src0_sel:WORD_1 src1_sel:DWORD
	v_fma_f16 v75, v21, v76, -v1
	v_mul_f16_sdwa v76, v32, v79 dst_sel:DWORD dst_unused:UNUSED_PAD src0_sel:WORD_1 src1_sel:DWORD
	v_mul_f16_sdwa v1, v32, v59 dst_sel:DWORD dst_unused:UNUSED_PAD src0_sel:WORD_1 src1_sel:DWORD
	v_lshrrev_b32_e32 v84, 16, v63
	v_fmac_f16_e32 v53, v22, v60
	v_fma_f16 v60, v22, v77, -v20
	v_fmac_f16_e32 v73, v23, v57
	v_fma_f16 v57, v23, v78, -v24
	v_mul_f16_sdwa v77, v33, v80 dst_sel:DWORD dst_unused:UNUSED_PAD src0_sel:WORD_1 src1_sel:DWORD
	v_mul_f16_sdwa v20, v33, v62 dst_sel:DWORD dst_unused:UNUSED_PAD src0_sel:WORD_1 src1_sel:DWORD
	;; [unrolled: 1-line block ×3, first 2 shown]
	v_fmac_f16_e32 v76, v32, v59
	v_fma_f16 v32, v32, v79, -v1
	v_mul_f16_sdwa v1, v34, v61 dst_sel:DWORD dst_unused:UNUSED_PAD src0_sel:WORD_1 src1_sel:DWORD
	v_mul_f16_sdwa v59, v35, v82 dst_sel:DWORD dst_unused:UNUSED_PAD src0_sel:WORD_1 src1_sel:DWORD
	s_waitcnt lgkmcnt(2)
	v_lshrrev_b32_e32 v83, 16, v66
	v_lshrrev_b32_e32 v86, 16, v65
	v_fmac_f16_e32 v77, v33, v62
	v_fma_f16 v33, v33, v80, -v20
	v_fmac_f16_e32 v78, v34, v61
	v_mul_f16_sdwa v20, v35, v64 dst_sel:DWORD dst_unused:UNUSED_PAD src0_sel:WORD_1 src1_sel:DWORD
	v_fma_f16 v34, v34, v81, -v1
	v_fmac_f16_e32 v59, v35, v64
	v_mul_f16_sdwa v64, v29, v84 dst_sel:DWORD dst_unused:UNUSED_PAD src0_sel:WORD_1 src1_sel:DWORD
	v_mul_f16_sdwa v1, v29, v63 dst_sel:DWORD dst_unused:UNUSED_PAD src0_sel:WORD_1 src1_sel:DWORD
	s_waitcnt lgkmcnt(1)
	v_lshrrev_b32_e32 v85, 16, v68
	v_lshrrev_b32_e32 v89, 16, v54
	v_mul_f16_sdwa v61, v28, v83 dst_sel:DWORD dst_unused:UNUSED_PAD src0_sel:WORD_1 src1_sel:DWORD
	v_mul_f16_sdwa v21, v28, v66 dst_sel:DWORD dst_unused:UNUSED_PAD src0_sel:WORD_1 src1_sel:DWORD
	;; [unrolled: 1-line block ×3, first 2 shown]
	v_fmac_f16_e32 v64, v29, v63
	v_fma_f16 v63, v29, v84, -v1
	v_mul_f16_sdwa v1, v31, v65 dst_sel:DWORD dst_unused:UNUSED_PAD src0_sel:WORD_1 src1_sel:DWORD
	v_lshrrev_b32_e32 v88, 16, v67
	v_lshrrev_b32_e32 v90, 16, v69
	v_fma_f16 v35, v35, v82, -v20
	v_fmac_f16_e32 v61, v28, v66
	v_fma_f16 v62, v28, v83, -v21
	v_mul_f16_sdwa v66, v30, v85 dst_sel:DWORD dst_unused:UNUSED_PAD src0_sel:WORD_1 src1_sel:DWORD
	v_mul_f16_sdwa v20, v30, v68 dst_sel:DWORD dst_unused:UNUSED_PAD src0_sel:WORD_1 src1_sel:DWORD
	v_fmac_f16_e32 v79, v31, v65
	v_mul_f16_sdwa v22, v37, v89 dst_sel:DWORD dst_unused:UNUSED_PAD src0_sel:WORD_1 src1_sel:DWORD
	v_mul_f16_sdwa v21, v37, v54 dst_sel:DWORD dst_unused:UNUSED_PAD src0_sel:WORD_1 src1_sel:DWORD
	v_fma_f16 v31, v31, v86, -v1
	v_add_f16_e32 v1, v92, v94
	v_lshrrev_b32_e32 v51, 16, v2
	s_waitcnt lgkmcnt(0)
	v_lshrrev_b32_e32 v91, 16, v74
	v_fmac_f16_e32 v66, v30, v68
	v_fma_f16 v30, v30, v85, -v20
	v_mul_f16_sdwa v24, v36, v88 dst_sel:DWORD dst_unused:UNUSED_PAD src0_sel:WORD_1 src1_sel:DWORD
	v_mul_f16_sdwa v20, v36, v67 dst_sel:DWORD dst_unused:UNUSED_PAD src0_sel:WORD_1 src1_sel:DWORD
	v_fmac_f16_e32 v22, v37, v54
	v_fma_f16 v21, v37, v89, -v21
	v_mul_f16_sdwa v26, v38, v90 dst_sel:DWORD dst_unused:UNUSED_PAD src0_sel:WORD_1 src1_sel:DWORD
	v_mul_f16_sdwa v23, v38, v69 dst_sel:DWORD dst_unused:UNUSED_PAD src0_sel:WORD_1 src1_sel:DWORD
	v_fma_f16 v1, -0.5, v1, v2
	v_sub_f16_e32 v37, v70, v56
	v_sub_f16_e32 v28, v87, v92
	;; [unrolled: 1-line block ×3, first 2 shown]
	v_add_f16_e32 v54, v87, v71
	v_mul_f16_sdwa v65, v39, v74 dst_sel:DWORD dst_unused:UNUSED_PAD src0_sel:WORD_1 src1_sel:DWORD
	v_fmac_f16_e32 v24, v36, v67
	v_fma_f16 v20, v36, v88, -v20
	v_mul_f16_sdwa v36, v39, v91 dst_sel:DWORD dst_unused:UNUSED_PAD src0_sel:WORD_1 src1_sel:DWORD
	v_add_f16_e32 v27, v2, v87
	v_fmac_f16_e32 v26, v38, v69
	v_fma_f16 v25, v38, v90, -v23
	v_fmamk_f16 v23, v37, 0xbb9c, v1
	v_sub_f16_e32 v38, v52, v55
	v_add_f16_e32 v67, v28, v29
	v_fma_f16 v2, -0.5, v54, v2
	v_fma_f16 v29, v39, v91, -v65
	v_fmac_f16_e32 v1, 0x3b9c, v37
	v_add_f16_e32 v65, v51, v70
	v_fmac_f16_e32 v36, v39, v74
	v_add_f16_e32 v27, v27, v92
	v_fmac_f16_e32 v23, 0xb8b4, v38
	v_fmamk_f16 v28, v38, 0x3b9c, v2
	v_sub_f16_e32 v39, v92, v87
	v_sub_f16_e32 v54, v94, v71
	v_fmac_f16_e32 v1, 0x38b4, v38
	v_add_f16_e32 v68, v52, v55
	v_fmac_f16_e32 v2, 0xbb9c, v38
	v_add_f16_e32 v38, v65, v52
	v_add_f16_e32 v27, v27, v94
	v_fmac_f16_e32 v23, 0x34f2, v67
	v_fmac_f16_e32 v28, 0xb8b4, v37
	v_add_f16_e32 v39, v39, v54
	v_fma_f16 v54, -0.5, v68, v51
	v_sub_f16_e32 v65, v87, v71
	v_fmac_f16_e32 v1, 0x34f2, v67
	v_fmac_f16_e32 v2, 0x38b4, v37
	v_add_f16_e32 v37, v38, v55
	v_add_f16_e32 v67, v70, v56
	;; [unrolled: 1-line block ×3, first 2 shown]
	v_fmamk_f16 v38, v65, 0x3b9c, v54
	v_sub_f16_e32 v68, v92, v94
	v_sub_f16_e32 v69, v70, v52
	;; [unrolled: 1-line block ×3, first 2 shown]
	v_fmac_f16_e32 v51, -0.5, v67
	v_add_f16_e32 v37, v37, v56
	v_fmac_f16_e32 v54, 0xbb9c, v65
	v_sub_f16_e32 v52, v52, v70
	v_sub_f16_e32 v55, v55, v56
	v_add_f16_e32 v56, v93, v53
	v_lshrrev_b32_e32 v18, 16, v3
	v_fmac_f16_e32 v28, 0x34f2, v39
	v_fmac_f16_e32 v2, 0x34f2, v39
	;; [unrolled: 1-line block ×3, first 2 shown]
	v_add_f16_e32 v39, v69, v71
	v_fmamk_f16 v67, v68, 0xbb9c, v51
	v_fmac_f16_e32 v54, 0xb8b4, v68
	v_add_f16_e32 v52, v52, v55
	v_add_f16_e32 v55, v3, v72
	v_fma_f16 v56, -0.5, v56, v3
	v_sub_f16_e32 v69, v58, v57
	v_fmac_f16_e32 v51, 0x3b9c, v68
	v_add_f16_e32 v74, v72, v73
	v_fmac_f16_e32 v38, 0x34f2, v39
	v_fmac_f16_e32 v67, 0x38b4, v65
	;; [unrolled: 1-line block ×3, first 2 shown]
	v_add_f16_e32 v39, v55, v93
	v_fmamk_f16 v55, v69, 0xbb9c, v56
	v_sub_f16_e32 v68, v75, v60
	v_sub_f16_e32 v70, v72, v93
	;; [unrolled: 1-line block ×3, first 2 shown]
	v_fmac_f16_e32 v51, 0xb8b4, v65
	v_fmac_f16_e32 v3, -0.5, v74
	v_fmac_f16_e32 v56, 0x3b9c, v69
	v_add_f16_e32 v74, v18, v58
	v_fmac_f16_e32 v67, 0x34f2, v52
	v_fmac_f16_e32 v55, 0xb8b4, v68
	v_add_f16_e32 v65, v70, v71
	v_fmac_f16_e32 v51, 0x34f2, v52
	v_fmamk_f16 v52, v68, 0x3b9c, v3
	v_sub_f16_e32 v70, v93, v72
	v_sub_f16_e32 v71, v53, v73
	v_fmac_f16_e32 v56, 0x38b4, v68
	v_add_f16_e32 v80, v75, v60
	v_fmac_f16_e32 v3, 0xbb9c, v68
	v_add_f16_e32 v68, v74, v75
	v_add_f16_e32 v39, v39, v53
	v_fmac_f16_e32 v55, 0x34f2, v65
	v_fmac_f16_e32 v52, 0xb8b4, v69
	v_add_f16_e32 v70, v70, v71
	v_fma_f16 v71, -0.5, v80, v18
	v_sub_f16_e32 v72, v72, v73
	v_fmac_f16_e32 v56, 0x34f2, v65
	v_fmac_f16_e32 v3, 0x38b4, v69
	v_add_f16_e32 v65, v68, v60
	v_add_f16_e32 v69, v58, v57
	;; [unrolled: 1-line block ×3, first 2 shown]
	v_fmamk_f16 v68, v72, 0x3b9c, v71
	v_sub_f16_e32 v53, v93, v53
	v_sub_f16_e32 v73, v58, v75
	v_sub_f16_e32 v74, v57, v60
	v_fmac_f16_e32 v18, -0.5, v69
	v_add_f16_e32 v65, v65, v57
	v_fmac_f16_e32 v71, 0xbb9c, v72
	v_sub_f16_e32 v58, v75, v58
	v_sub_f16_e32 v57, v60, v57
	v_fmac_f16_e32 v52, 0x34f2, v70
	v_fmac_f16_e32 v3, 0x34f2, v70
	;; [unrolled: 1-line block ×3, first 2 shown]
	v_add_f16_e32 v69, v73, v74
	v_fmamk_f16 v70, v53, 0xbb9c, v18
	v_add_f16_e32 v60, v77, v78
	v_fmac_f16_e32 v71, 0xb8b4, v53
	v_add_f16_e32 v57, v58, v57
	v_add_f16_e32 v58, v4, v76
	v_fmac_f16_e32 v18, 0x3b9c, v53
	v_add_f16_e32 v80, v76, v59
	v_lshrrev_b32_e32 v19, 16, v4
	v_fmac_f16_e32 v68, 0x34f2, v69
	v_fmac_f16_e32 v70, 0x38b4, v72
	v_fma_f16 v60, -0.5, v60, v4
	v_sub_f16_e32 v73, v32, v35
	v_fmac_f16_e32 v71, 0x34f2, v69
	v_add_f16_e32 v53, v58, v77
	v_sub_f16_e32 v69, v33, v34
	v_sub_f16_e32 v74, v76, v77
	;; [unrolled: 1-line block ×3, first 2 shown]
	v_fmac_f16_e32 v18, 0xb8b4, v72
	v_fma_f16 v4, -0.5, v80, v4
	v_fmac_f16_e32 v70, 0x34f2, v57
	v_fmamk_f16 v58, v73, 0xbb9c, v60
	v_add_f16_e32 v53, v53, v78
	v_add_f16_e32 v72, v74, v75
	v_fmac_f16_e32 v18, 0x34f2, v57
	v_fmac_f16_e32 v60, 0x3b9c, v73
	v_fmamk_f16 v57, v69, 0x3b9c, v4
	v_sub_f16_e32 v74, v77, v76
	v_sub_f16_e32 v75, v78, v59
	v_add_f16_e32 v80, v19, v32
	v_add_f16_e32 v81, v33, v34
	v_fmac_f16_e32 v4, 0xbb9c, v69
	v_fmac_f16_e32 v58, 0xb8b4, v69
	v_add_f16_e32 v53, v53, v59
	v_fmac_f16_e32 v60, 0x38b4, v69
	v_fmac_f16_e32 v57, 0xb8b4, v73
	v_add_f16_e32 v74, v74, v75
	v_add_f16_e32 v69, v80, v33
	v_fma_f16 v75, -0.5, v81, v19
	v_sub_f16_e32 v59, v76, v59
	v_fmac_f16_e32 v4, 0x38b4, v73
	v_add_f16_e32 v73, v32, v35
	v_sub_f16_e32 v76, v77, v78
	v_sub_f16_e32 v77, v32, v33
	;; [unrolled: 1-line block ×4, first 2 shown]
	v_fmac_f16_e32 v58, 0x34f2, v72
	v_fmac_f16_e32 v60, 0x34f2, v72
	v_add_f16_e32 v69, v69, v34
	v_fmamk_f16 v72, v59, 0x3b9c, v75
	v_sub_f16_e32 v78, v35, v34
	v_fmac_f16_e32 v19, -0.5, v73
	v_fmac_f16_e32 v75, 0xbb9c, v59
	v_add_f16_e32 v34, v64, v66
	v_add_f16_e32 v32, v32, v33
	;; [unrolled: 1-line block ×3, first 2 shown]
	v_lshrrev_b32_e32 v17, 16, v5
	v_fmac_f16_e32 v57, 0x34f2, v74
	v_fmac_f16_e32 v4, 0x34f2, v74
	v_add_f16_e32 v69, v69, v35
	v_fmac_f16_e32 v72, 0x38b4, v76
	v_add_f16_e32 v73, v77, v78
	v_fmamk_f16 v74, v76, 0xbb9c, v19
	v_fmac_f16_e32 v75, 0xb8b4, v76
	v_fma_f16 v34, -0.5, v34, v5
	v_sub_f16_e32 v35, v62, v31
	v_fmac_f16_e32 v19, 0x3b9c, v76
	v_add_f16_e32 v33, v33, v64
	v_add_f16_e32 v80, v61, v79
	v_fmac_f16_e32 v72, 0x34f2, v73
	v_fmac_f16_e32 v74, 0x38b4, v59
	;; [unrolled: 1-line block ×3, first 2 shown]
	v_fmamk_f16 v73, v35, 0xbb9c, v34
	v_sub_f16_e32 v76, v63, v30
	v_sub_f16_e32 v77, v61, v64
	;; [unrolled: 1-line block ×3, first 2 shown]
	v_fmac_f16_e32 v19, 0xb8b4, v59
	v_add_f16_e32 v33, v33, v66
	v_fmac_f16_e32 v5, -0.5, v80
	v_fmac_f16_e32 v34, 0x3b9c, v35
	v_add_f16_e32 v80, v17, v62
	v_fmac_f16_e32 v74, 0x34f2, v32
	v_fmac_f16_e32 v73, 0xb8b4, v76
	v_add_f16_e32 v59, v77, v78
	v_fmac_f16_e32 v19, 0x34f2, v32
	v_add_f16_e32 v32, v33, v79
	v_fmamk_f16 v33, v76, 0x3b9c, v5
	v_sub_f16_e32 v77, v64, v61
	v_sub_f16_e32 v78, v66, v79
	v_fmac_f16_e32 v34, 0x38b4, v76
	v_add_f16_e32 v81, v63, v30
	v_fmac_f16_e32 v5, 0xbb9c, v76
	v_add_f16_e32 v76, v80, v63
	;; [unrolled: 2-line block ×3, first 2 shown]
	v_fma_f16 v78, -0.5, v81, v17
	v_sub_f16_e32 v61, v61, v79
	v_fmac_f16_e32 v5, 0x38b4, v35
	v_add_f16_e32 v35, v76, v30
	v_add_f16_e32 v76, v62, v31
	v_fmac_f16_e32 v73, 0x34f2, v59
	v_fmac_f16_e32 v34, 0x34f2, v59
	v_fmamk_f16 v59, v61, 0x3b9c, v78
	v_sub_f16_e32 v64, v64, v66
	v_sub_f16_e32 v66, v62, v63
	v_sub_f16_e32 v79, v31, v30
	v_fmac_f16_e32 v17, -0.5, v76
	v_add_f16_e32 v35, v35, v31
	v_fmac_f16_e32 v78, 0xbb9c, v61
	v_sub_f16_e32 v62, v63, v62
	v_sub_f16_e32 v30, v30, v31
	v_add_f16_e32 v31, v22, v26
	v_fmac_f16_e32 v59, 0x38b4, v64
	v_add_f16_e32 v66, v66, v79
	v_fmamk_f16 v76, v64, 0xbb9c, v17
	v_fmac_f16_e32 v78, 0xb8b4, v64
	v_add_f16_e32 v30, v62, v30
	v_fmac_f16_e32 v17, 0x3b9c, v64
	v_add_f16_e32 v62, v0, v24
	v_fma_f16 v31, -0.5, v31, v0
	v_sub_f16_e32 v63, v20, v29
	v_fmac_f16_e32 v33, 0x34f2, v77
	v_fmac_f16_e32 v5, 0x34f2, v77
	;; [unrolled: 1-line block ×6, first 2 shown]
	v_add_f16_e32 v61, v62, v22
	v_fmamk_f16 v62, v63, 0xbb9c, v31
	v_sub_f16_e32 v64, v21, v25
	v_sub_f16_e32 v66, v24, v22
	;; [unrolled: 1-line block ×3, first 2 shown]
	v_fmac_f16_e32 v31, 0x3b9c, v63
	v_add_f16_e32 v79, v24, v36
	v_lshrrev_b32_e32 v15, 16, v0
	v_add_f16_e32 v61, v61, v26
	v_fmac_f16_e32 v62, 0xb8b4, v64
	v_add_f16_e32 v66, v66, v77
	v_fmac_f16_e32 v31, 0x38b4, v64
	v_fmac_f16_e32 v0, -0.5, v79
	v_sub_f16_e32 v77, v22, v24
	v_sub_f16_e32 v79, v26, v36
	v_fmac_f16_e32 v76, 0x34f2, v30
	v_fmac_f16_e32 v17, 0x34f2, v30
	v_add_f16_e32 v30, v61, v36
	v_fmac_f16_e32 v62, 0x34f2, v66
	v_fmac_f16_e32 v31, 0x34f2, v66
	v_fmamk_f16 v61, v64, 0x3b9c, v0
	v_add_f16_e32 v66, v21, v25
	v_fmac_f16_e32 v0, 0xbb9c, v64
	v_sub_f16_e32 v24, v24, v36
	v_add_f16_e32 v36, v77, v79
	v_add_f16_e32 v77, v20, v29
	;; [unrolled: 1-line block ×3, first 2 shown]
	v_fma_f16 v66, -0.5, v66, v15
	v_fmac_f16_e32 v61, 0xb8b4, v63
	v_fmac_f16_e32 v0, 0x38b4, v63
	v_sub_f16_e32 v22, v22, v26
	v_fmac_f16_e32 v15, -0.5, v77
	v_add_f16_e32 v63, v64, v21
	v_fmac_f16_e32 v61, 0x34f2, v36
	v_fmac_f16_e32 v0, 0x34f2, v36
	v_sub_f16_e32 v36, v20, v21
	v_fmamk_f16 v77, v22, 0xbb9c, v15
	v_sub_f16_e32 v20, v21, v20
	v_sub_f16_e32 v21, v25, v29
	v_fmac_f16_e32 v15, 0x3b9c, v22
	v_fmamk_f16 v64, v24, 0x3b9c, v66
	v_fmac_f16_e32 v66, 0xbb9c, v24
	v_fmac_f16_e32 v77, 0x38b4, v24
	v_add_f16_e32 v20, v20, v21
	v_fmac_f16_e32 v15, 0xb8b4, v24
	v_fmac_f16_e32 v64, 0x38b4, v22
	;; [unrolled: 1-line block ×3, first 2 shown]
	v_pack_b32_f16 v22, v23, v38
	v_add_f16_e32 v26, v63, v25
	v_sub_f16_e32 v63, v29, v25
	v_pack_b32_f16 v23, v28, v67
	v_pack_b32_f16 v2, v2, v51
	;; [unrolled: 1-line block ×3, first 2 shown]
	v_fmac_f16_e32 v77, 0x34f2, v20
	v_fmac_f16_e32 v15, 0x34f2, v20
	v_pack_b32_f16 v20, v27, v37
	v_pack_b32_f16 v24, v39, v65
	ds_write_b32 v118, v22 offset:1800
	ds_write_b32 v118, v23 offset:3600
	;; [unrolled: 1-line block ×4, first 2 shown]
	ds_write2_b32 v118, v20, v24 offset1:90
	v_pack_b32_f16 v1, v52, v70
	v_pack_b32_f16 v2, v3, v18
	;; [unrolled: 1-line block ×4, first 2 shown]
	v_add_f16_e32 v25, v36, v63
	v_pack_b32_f16 v3, v56, v71
	v_add_f16_e32 v21, v26, v29
	ds_write_b32 v118, v1 offset:3960
	ds_write_b32 v118, v2 offset:5760
	;; [unrolled: 1-line block ×3, first 2 shown]
	v_pack_b32_f16 v1, v53, v69
	ds_write2_b32 v16, v18, v20 offset0:28 offset1:118
	v_pack_b32_f16 v2, v57, v74
	v_pack_b32_f16 v3, v4, v19
	;; [unrolled: 1-line block ×4, first 2 shown]
	v_fmac_f16_e32 v64, 0x34f2, v25
	v_pack_b32_f16 v5, v5, v17
	v_add_nc_u32_e32 v17, 0x1600, v118
	v_pack_b32_f16 v4, v60, v75
	v_pack_b32_f16 v20, v34, v78
	v_fmac_f16_e32 v66, 0x34f2, v25
	ds_write2_b32 v8, v1, v18 offset0:52 offset1:142
	ds_write2_b32 v10, v2, v19 offset0:56 offset1:146
	;; [unrolled: 1-line block ×4, first 2 shown]
	v_pack_b32_f16 v2, v30, v21
	v_pack_b32_f16 v1, v73, v59
	;; [unrolled: 1-line block ×6, first 2 shown]
	ds_write_b32 v118, v2 offset:1440
	ds_write2_b32 v14, v1, v3 offset0:80 offset1:170
	ds_write_b32 v118, v4 offset:5040
	ds_write_b32 v118, v0 offset:6840
	;; [unrolled: 1-line block ×3, first 2 shown]
	s_waitcnt lgkmcnt(0)
	s_barrier
	buffer_gl0_inv
	ds_read2_b32 v[14:15], v118 offset1:90
	s_waitcnt lgkmcnt(0)
	v_lshrrev_b32_e32 v2, 16, v14
	v_mul_f16_sdwa v3, v138, v14 dst_sel:DWORD dst_unused:UNUSED_PAD src0_sel:WORD_1 src1_sel:DWORD
	v_mul_f16_sdwa v0, v138, v2 dst_sel:DWORD dst_unused:UNUSED_PAD src0_sel:WORD_1 src1_sel:DWORD
	v_fma_f16 v2, v138, v2, -v3
	v_fmac_f16_e32 v0, v138, v14
	v_cvt_f32_f16_e32 v2, v2
	v_cvt_f32_f16_e32 v0, v0
	v_cvt_f64_f32_e32 v[2:3], v2
	v_cvt_f64_f32_e32 v[0:1], v0
	v_mul_f64 v[17:18], v[2:3], s[4:5]
	v_mul_f64 v[4:5], v[0:1], s[4:5]
	ds_read2_b32 v[1:2], v8 offset0:97 offset1:187
	v_bfe_u32 v21, v18, 20, 11
	s_waitcnt lgkmcnt(0)
	v_lshrrev_b32_e32 v22, 16, v1
	v_and_or_b32 v0, 0x1ff, v5, v4
	v_lshrrev_b32_e32 v3, 8, v5
	v_bfe_u32 v4, v5, 20, 11
	v_lshrrev_b32_e32 v5, 16, v5
	v_mul_f16_sdwa v20, v139, v22 dst_sel:DWORD dst_unused:UNUSED_PAD src0_sel:WORD_1 src1_sel:DWORD
	v_cmp_ne_u32_e64 s0, 0, v0
	v_fmac_f16_e32 v20, v139, v1
	v_cndmask_b32_e64 v0, 0, 1, s0
	v_mul_f16_sdwa v1, v139, v1 dst_sel:DWORD dst_unused:UNUSED_PAD src0_sel:WORD_1 src1_sel:DWORD
	v_and_or_b32 v8, 0xffe, v3, v0
	v_sub_nc_u32_e32 v0, 0x3f1, v4
	v_and_or_b32 v3, 0x1ff, v18, v17
	v_lshrrev_b32_e32 v17, 8, v18
	v_fma_f16 v22, v139, v22, -v1
	v_or_b32_e32 v14, 0x1000, v8
	v_med3_i32 v0, v0, 0, 13
	v_cmp_ne_u32_e64 s0, 0, v3
	v_lshrrev_b32_e32 v18, 16, v18
	v_lshrrev_b32_e32 v19, v0, v14
	v_cndmask_b32_e64 v3, 0, 1, s0
	v_lshlrev_b32_e32 v0, v0, v19
	v_and_or_b32 v17, 0xffe, v17, v3
	v_sub_nc_u32_e32 v3, 0x3f1, v21
	v_cmp_ne_u32_e64 s0, v0, v14
	v_or_b32_e32 v23, 0x1000, v17
	v_med3_i32 v3, v3, 0, 13
	v_add_nc_u32_e32 v14, 0xfffffc10, v4
	v_cvt_f32_f16_e32 v4, v20
	v_cndmask_b32_e64 v0, 0, 1, s0
	v_lshrrev_b32_e32 v24, v3, v23
	v_lshl_or_b32 v25, v14, 12, v8
	v_cmp_gt_i32_e64 s0, 1, v14
	v_or_b32_e32 v0, v19, v0
	v_mad_u64_u32 v[19:20], null, s10, v50, 0
	v_lshlrev_b32_e32 v26, v3, v24
	v_cvt_f64_f32_e32 v[3:4], v4
	v_cndmask_b32_e64 v25, v25, v0, s0
	v_cmp_gt_i32_e64 s2, 31, v14
	v_cmp_ne_u32_e64 s0, v26, v23
	v_add_nc_u32_e32 v26, 0xfffffc10, v21
	v_mov_b32_e32 v0, v20
	v_and_b32_e32 v20, 7, v25
	v_cndmask_b32_e64 v23, 0, 1, s0
	v_cmp_gt_i32_e64 s1, 1, v26
	v_mad_u64_u32 v[0:1], null, s11, v50, v[0:1]
	v_cmp_lt_i32_e64 s0, 5, v20
	v_or_b32_e32 v21, v24, v23
	v_lshl_or_b32 v23, v26, 12, v17
	v_cvt_f32_f16_e32 v1, v22
	v_cndmask_b32_e64 v22, v23, v21, s1
	v_cmp_eq_u32_e64 s1, 3, v20
	v_lshrrev_b32_e32 v23, 2, v25
	v_mul_f64 v[20:21], v[3:4], s[4:5]
	v_cvt_f64_f32_e32 v[3:4], v1
	v_and_b32_e32 v1, 7, v22
	s_or_b32 s0, s1, s0
	v_add_co_ci_u32_e64 v23, s0, 0, v23, s0
	v_cmp_ne_u32_e64 s0, 0, v8
	v_cmp_eq_u32_e64 s1, 3, v1
	v_cndmask_b32_e64 v8, 0, 1, s0
	v_cmp_lt_i32_e64 s0, 5, v1
	v_lshrrev_b32_e32 v1, 2, v22
	v_cndmask_b32_e64 v22, 0x7c00, v23, s2
	v_lshl_or_b32 v8, v8, 9, 0x7c00
	s_or_b32 s0, s1, s0
	v_add_co_ci_u32_e64 v1, s0, 0, v1, s0
	v_cmp_eq_u32_e64 s0, 0x40f, v14
	v_and_or_b32 v20, 0x1ff, v21, v20
	v_bfe_u32 v24, v21, 20, 11
	v_cndmask_b32_e64 v14, v22, v8, s0
	v_cmp_gt_i32_e64 s0, 31, v26
	v_mul_f64 v[22:23], v[3:4], s[4:5]
	ds_read2_b32 v[7:8], v7 offset0:66 offset1:156
	v_and_or_b32 v5, 0x8000, v5, v14
	v_cndmask_b32_e64 v1, 0x7c00, v1, s0
	v_cmp_ne_u32_e64 s0, 0, v17
	v_and_b32_e32 v5, 0xffff, v5
	v_cndmask_b32_e64 v3, 0, 1, s0
	v_cmp_ne_u32_e64 s0, 0, v20
	v_lshrrev_b32_e32 v20, 8, v21
	v_lshrrev_b32_e32 v21, 16, v21
	v_lshl_or_b32 v25, v3, 9, 0x7c00
	v_cndmask_b32_e64 v17, 0, 1, s0
	v_cmp_eq_u32_e64 s0, 0x40f, v26
	v_mad_u64_u32 v[3:4], null, s8, v136, 0
	v_and_or_b32 v27, 0xffe, v20, v17
	v_sub_nc_u32_e32 v17, 0x3f1, v24
	v_cndmask_b32_e64 v1, v1, v25, s0
	v_mov_b32_e32 v20, v0
	s_waitcnt lgkmcnt(0)
	v_lshrrev_b32_e32 v26, 16, v7
	v_or_b32_e32 v25, 0x1000, v27
	v_med3_i32 v17, v17, 0, 13
	v_and_or_b32 v14, 0x8000, v18, v1
	v_mov_b32_e32 v0, v4
	v_and_or_b32 v18, 0x1ff, v23, v22
	v_lshrrev_b32_e32 v22, 8, v23
	v_lshrrev_b32_e32 v4, v17, v25
	v_bfe_u32 v28, v23, 20, 11
	v_mad_u64_u32 v[0:1], null, s9, v136, v[0:1]
	v_cmp_ne_u32_e64 s0, 0, v18
	v_lshlrev_b32_e32 v17, v17, v4
	v_mul_f16_sdwa v1, v135, v26 dst_sel:DWORD dst_unused:UNUSED_PAD src0_sel:WORD_1 src1_sel:DWORD
	v_add_nc_u32_e32 v24, 0xfffffc10, v24
	v_lshlrev_b64 v[19:20], 2, v[19:20]
	v_cndmask_b32_e64 v18, 0, 1, s0
	v_cmp_ne_u32_e64 s0, v17, v25
	v_fmac_f16_e32 v1, v135, v7
	v_sub_nc_u32_e32 v25, 0x3f1, v28
	v_lshl_or_b32 v29, v24, 12, v27
	v_and_or_b32 v22, 0xffe, v22, v18
	v_cndmask_b32_e64 v17, 0, 1, s0
	v_cvt_f32_f16_e32 v1, v1
	v_cmp_gt_i32_e64 s0, 1, v24
	v_med3_i32 v25, v25, 0, 13
	v_lshl_or_b32 v14, v14, 16, v5
	v_or_b32_e32 v4, v4, v17
	v_cvt_f64_f32_e32 v[17:18], v1
	v_or_b32_e32 v1, 0x1000, v22
	v_cndmask_b32_e64 v29, v29, v4, s0
	v_mov_b32_e32 v4, v0
	v_lshrrev_b32_e32 v30, v25, v1
	v_and_b32_e32 v0, 7, v29
	v_lshlrev_b32_e32 v5, v25, v30
	v_add_co_u32 v25, s0, s6, v19
	v_add_co_ci_u32_e64 v31, s0, s7, v20, s0
	v_cmp_lt_i32_e64 s0, 5, v0
	v_cmp_eq_u32_e64 s1, 3, v0
	v_lshrrev_b32_e32 v0, 2, v29
	v_cmp_ne_u32_e64 s2, v5, v1
	v_mul_f16_sdwa v5, v135, v7 dst_sel:DWORD dst_unused:UNUSED_PAD src0_sel:WORD_1 src1_sel:DWORD
	v_add_nc_u32_e32 v7, 0xfffffc10, v28
	s_or_b32 s0, s1, s0
	v_mul_f64 v[17:18], v[17:18], s[4:5]
	v_add_co_ci_u32_e64 v0, s0, 0, v0, s0
	v_cndmask_b32_e64 v1, 0, 1, s2
	v_cmp_ne_u32_e64 s0, 0, v27
	v_fma_f16 v5, v135, v26, -v5
	v_lshl_or_b32 v19, v7, 12, v22
	v_or_b32_e32 v1, v30, v1
	v_cndmask_b32_e64 v20, 0, 1, s0
	v_cmp_gt_i32_e64 s0, 1, v7
	v_cvt_f32_f16_e32 v5, v5
	v_lshl_or_b32 v28, v20, 9, 0x7c00
	v_cndmask_b32_e64 v26, v19, v1, s0
	v_cmp_gt_i32_e64 s0, 31, v24
	v_lshlrev_b64 v[19:20], 2, v[3:4]
	v_and_b32_e32 v3, 7, v26
	v_cndmask_b32_e64 v27, 0x7c00, v0, s0
	v_cvt_f64_f32_e32 v[0:1], v5
	v_cmp_eq_u32_e64 s0, 0x40f, v24
	ds_read2_b32 v[4:5], v16 offset0:163 offset1:253
	v_and_or_b32 v16, 0x1ff, v18, v17
	v_cmp_eq_u32_e64 s1, 3, v3
	v_lshrrev_b32_e32 v17, 8, v18
	v_cndmask_b32_e64 v24, v27, v28, s0
	v_cmp_lt_i32_e64 s0, 5, v3
	v_cmp_ne_u32_e64 s2, 0, v16
	v_lshrrev_b32_e32 v3, 2, v26
	v_bfe_u32 v26, v18, 20, 11
	v_and_or_b32 v21, 0x8000, v21, v24
	s_or_b32 s0, s1, s0
	v_cndmask_b32_e64 v16, 0, 1, s2
	v_add_co_ci_u32_e64 v3, s0, 0, v3, s0
	v_cmp_ne_u32_e64 s0, 0, v22
	v_sub_nc_u32_e32 v28, 0x3f1, v26
	v_and_or_b32 v27, 0xffe, v17, v16
	v_and_b32_e32 v21, 0xffff, v21
	s_mul_i32 s1, s9, 0xe1
	v_cndmask_b32_e64 v22, 0, 1, s0
	v_mul_f64 v[16:17], v[0:1], s[4:5]
	v_cmp_gt_i32_e64 s0, 31, v7
	s_waitcnt lgkmcnt(0)
	v_lshrrev_b32_e32 v29, 16, v4
	s_mul_hi_u32 s2, s8, 0xe1
	v_lshl_or_b32 v1, v22, 9, 0x7c00
	v_med3_i32 v22, v28, 0, 13
	v_cndmask_b32_e64 v0, 0x7c00, v3, s0
	v_or_b32_e32 v3, 0x1000, v27
	v_cmp_eq_u32_e64 s0, 0x40f, v7
	v_mul_f16_sdwa v28, v137, v29 dst_sel:DWORD dst_unused:UNUSED_PAD src0_sel:WORD_1 src1_sel:DWORD
	s_add_i32 s1, s2, s1
	v_lshrrev_b32_e32 v7, v22, v3
	v_cndmask_b32_e64 v0, v0, v1, s0
	v_lshrrev_b32_e32 v1, 16, v23
	v_fmac_f16_e32 v28, v137, v4
	v_add_co_u32 v19, s0, v25, v19
	v_lshlrev_b32_e32 v22, v22, v7
	v_add_co_ci_u32_e64 v20, s0, v31, v20, s0
	v_and_or_b32 v23, 0x8000, v1, v0
	v_and_or_b32 v16, 0x1ff, v17, v16
	v_cmp_ne_u32_e64 s0, v22, v3
	v_cvt_f32_f16_e32 v0, v28
	v_lshrrev_b32_e32 v22, 8, v17
	v_bfe_u32 v24, v17, 20, 11
	v_add_nc_u32_e32 v25, 0xfffffc10, v26
	v_cndmask_b32_e64 v3, 0, 1, s0
	v_cmp_ne_u32_e64 s0, 0, v16
	v_cvt_f64_f32_e32 v[0:1], v0
	v_lshl_or_b32 v30, v23, 16, v21
	v_or_b32_e32 v3, v7, v3
	v_cndmask_b32_e64 v16, 0, 1, s0
	v_lshl_or_b32 v7, v25, 12, v27
	v_cmp_gt_i32_e64 s0, 1, v25
	v_and_or_b32 v16, 0xffe, v22, v16
	v_sub_nc_u32_e32 v22, 0x3f1, v24
	v_cndmask_b32_e64 v7, v7, v3, s0
	s_mul_i32 s0, s8, 0xe1
	v_or_b32_e32 v26, 0x1000, v16
	v_med3_i32 v28, v22, 0, 13
	s_lshl_b64 s[6:7], s[0:1], 2
	v_and_b32_e32 v23, 7, v7
	v_add_co_u32 v3, s0, v19, s6
	v_lshrrev_b32_e32 v31, v28, v26
	v_lshrrev_b32_e32 v7, 2, v7
	v_mul_f64 v[21:22], v[0:1], s[4:5]
	v_mul_f16_sdwa v0, v137, v4 dst_sel:DWORD dst_unused:UNUSED_PAD src0_sel:WORD_1 src1_sel:DWORD
	v_add_co_ci_u32_e64 v4, s0, s7, v20, s0
	v_lshlrev_b32_e32 v1, v28, v31
	v_cmp_lt_i32_e64 s0, 5, v23
	v_cmp_eq_u32_e64 s1, 3, v23
	v_fma_f16 v0, v137, v29, -v0
	v_cmp_ne_u32_e64 s2, v1, v26
	v_add_nc_u32_e32 v26, 0xfffffc10, v24
	s_or_b32 s0, s1, s0
	v_cvt_f32_f16_e32 v0, v0
	v_add_co_ci_u32_e64 v7, s0, 0, v7, s0
	v_cndmask_b32_e64 v1, 0, 1, s2
	v_cmp_ne_u32_e64 s0, 0, v27
	v_cvt_f64_f32_e32 v[23:24], v0
	v_lshl_or_b32 v29, v26, 12, v16
	v_or_b32_e32 v28, v31, v1
	ds_read2_b32 v[0:1], v12 offset0:132 offset1:222
	v_cndmask_b32_e64 v12, 0, 1, s0
	v_cmp_gt_i32_e64 s0, 1, v26
	v_and_or_b32 v21, 0x1ff, v22, v21
	v_bfe_u32 v31, v22, 20, 11
	global_store_dword v[19:20], v14, off
	global_store_dword v[3:4], v30, off
	v_lshl_or_b32 v12, v12, 9, 0x7c00
	v_cndmask_b32_e64 v27, v29, v28, s0
	v_cmp_gt_i32_e64 s0, 31, v25
	v_lshrrev_b32_e32 v29, 8, v22
	v_and_b32_e32 v28, 7, v27
	v_cndmask_b32_e64 v7, 0x7c00, v7, s0
	v_cmp_ne_u32_e64 s0, 0, v21
	v_lshrrev_b32_e32 v27, 2, v27
	v_cmp_eq_u32_e64 s1, 3, v28
	v_mul_f64 v[23:24], v[23:24], s[4:5]
	v_cndmask_b32_e64 v21, 0, 1, s0
	v_cmp_eq_u32_e64 s0, 0x40f, v25
	v_and_or_b32 v25, 0xffe, v29, v21
	v_cndmask_b32_e64 v7, v7, v12, s0
	v_cmp_lt_i32_e64 s0, 5, v28
	v_lshrrev_b32_e32 v12, 16, v18
	v_sub_nc_u32_e32 v18, 0x3f1, v31
	v_or_b32_e32 v28, 0x1000, v25
	s_waitcnt lgkmcnt(0)
	v_lshrrev_b32_e32 v21, 16, v0
	s_or_b32 s0, s1, s0
	v_and_or_b32 v7, 0x8000, v12, v7
	v_add_co_ci_u32_e64 v27, s0, 0, v27, s0
	v_med3_i32 v18, v18, 0, 13
	v_cmp_ne_u32_e64 s0, 0, v16
	v_mul_f16_sdwa v29, v134, v21 dst_sel:DWORD dst_unused:UNUSED_PAD src0_sel:WORD_1 src1_sel:DWORD
	v_and_b32_e32 v7, 0xffff, v7
	v_lshrrev_b32_e32 v32, v18, v28
	v_cndmask_b32_e64 v16, 0, 1, s0
	v_cmp_gt_i32_e64 s0, 31, v26
	v_fmac_f16_e32 v29, v134, v0
	v_and_or_b32 v23, 0x1ff, v24, v23
	v_lshlrev_b32_e32 v12, v18, v32
	v_lshl_or_b32 v16, v16, 9, 0x7c00
	v_cndmask_b32_e64 v27, 0x7c00, v27, s0
	v_cmp_eq_u32_e64 s0, 0x40f, v26
	v_cvt_f32_f16_e32 v18, v29
	v_bfe_u32 v29, v24, 20, 11
	v_mul_f16_sdwa v0, v134, v0 dst_sel:DWORD dst_unused:UNUSED_PAD src0_sel:WORD_1 src1_sel:DWORD
	v_cndmask_b32_e64 v26, v27, v16, s0
	v_cmp_ne_u32_e64 s0, v12, v28
	v_lshrrev_b32_e32 v27, 16, v17
	v_cvt_f64_f32_e32 v[16:17], v18
	v_add_nc_u32_e32 v28, 0xfffffc10, v31
	v_fma_f16 v0, v134, v21, -v0
	v_cndmask_b32_e64 v12, 0, 1, s0
	v_cmp_ne_u32_e64 s0, 0, v23
	v_lshrrev_b32_e32 v23, 8, v24
	v_and_or_b32 v26, 0x8000, v27, v26
	v_lshl_or_b32 v27, v28, 12, v25
	v_or_b32_e32 v12, v32, v12
	v_cndmask_b32_e64 v18, 0, 1, s0
	v_cmp_gt_i32_e64 s0, 1, v28
	v_cvt_f32_f16_e32 v0, v0
	v_lshl_or_b32 v7, v26, 16, v7
	v_and_or_b32 v23, 0xffe, v23, v18
	v_sub_nc_u32_e32 v18, 0x3f1, v29
	v_cndmask_b32_e64 v12, v27, v12, s0
	v_or_b32_e32 v27, 0x1000, v23
	v_med3_i32 v31, v18, 0, 13
	v_and_b32_e32 v14, 7, v12
	v_mul_f64 v[16:17], v[16:17], s[4:5]
	v_add_co_u32 v18, s0, v3, s6
	v_lshrrev_b32_e32 v20, v31, v27
	v_add_co_ci_u32_e64 v19, s0, s7, v4, s0
	v_cmp_lt_i32_e64 s0, 5, v14
	v_cmp_eq_u32_e64 s1, 3, v14
	v_lshlrev_b32_e32 v3, v31, v20
	v_lshrrev_b32_e32 v4, 2, v12
	v_add_nc_u32_e32 v12, 0xfffffc10, v29
	global_store_dword v[18:19], v7, off
	s_or_b32 s0, s1, s0
	v_cmp_ne_u32_e64 s2, v3, v27
	v_add_co_ci_u32_e64 v14, s0, 0, v4, s0
	v_cmp_ne_u32_e64 s0, 0, v25
	v_cndmask_b32_e64 v3, 0, 1, s2
	v_and_or_b32 v16, 0x1ff, v17, v16
	v_or_b32_e32 v26, v20, v3
	v_cvt_f64_f32_e32 v[20:21], v0
	v_lshl_or_b32 v0, v12, 12, v23
	ds_read2_b32 v[3:4], v10 offset0:101 offset1:191
	v_cndmask_b32_e64 v10, 0, 1, s0
	v_cmp_gt_i32_e64 s0, 1, v12
	v_bfe_u32 v27, v17, 20, 11
	v_lshl_or_b32 v10, v10, 9, 0x7c00
	v_cndmask_b32_e64 v0, v0, v26, s0
	v_cmp_gt_i32_e64 s0, 31, v28
	v_lshrrev_b32_e32 v26, 8, v17
	v_lshrrev_b32_e32 v17, 16, v17
	v_and_b32_e32 v25, 7, v0
	v_cndmask_b32_e64 v14, 0x7c00, v14, s0
	v_cmp_ne_u32_e64 s0, 0, v16
	v_lshrrev_b32_e32 v0, 2, v0
	v_cmp_eq_u32_e64 s1, 3, v25
	v_cndmask_b32_e64 v16, 0, 1, s0
	v_cmp_eq_u32_e64 s0, 0x40f, v28
	v_mul_f64 v[20:21], v[20:21], s[4:5]
	v_and_or_b32 v16, 0xffe, v26, v16
	v_cndmask_b32_e64 v10, v14, v10, s0
	v_cmp_lt_i32_e64 s0, 5, v25
	v_lshrrev_b32_e32 v14, 16, v22
	v_sub_nc_u32_e32 v22, 0x3f1, v27
	s_waitcnt lgkmcnt(0)
	v_lshrrev_b32_e32 v26, 16, v3
	v_or_b32_e32 v25, 0x1000, v16
	s_or_b32 s0, s1, s0
	v_and_or_b32 v10, 0x8000, v14, v10
	v_add_co_ci_u32_e64 v0, s0, 0, v0, s0
	v_med3_i32 v22, v22, 0, 13
	v_cmp_ne_u32_e64 s0, 0, v23
	v_mul_f16_sdwa v28, v133, v26 dst_sel:DWORD dst_unused:UNUSED_PAD src0_sel:WORD_1 src1_sel:DWORD
	v_add_nc_u32_e32 v27, 0xfffffc10, v27
	v_and_b32_e32 v10, 0xffff, v10
	v_lshrrev_b32_e32 v29, v22, v25
	v_cndmask_b32_e64 v23, 0, 1, s0
	v_cmp_gt_i32_e64 s0, 31, v12
	v_fmac_f16_e32 v28, v133, v3
	v_and_or_b32 v20, 0x1ff, v21, v20
	v_lshlrev_b32_e32 v14, v22, v29
	v_lshl_or_b32 v23, v23, 9, 0x7c00
	v_cndmask_b32_e64 v0, 0x7c00, v0, s0
	v_cmp_eq_u32_e64 s0, 0x40f, v12
	v_cvt_f32_f16_e32 v22, v28
	v_lshrrev_b32_e32 v12, 16, v24
	v_lshrrev_b32_e32 v24, 8, v21
	v_mul_f16_sdwa v3, v133, v3 dst_sel:DWORD dst_unused:UNUSED_PAD src0_sel:WORD_1 src1_sel:DWORD
	v_cndmask_b32_e64 v0, v0, v23, s0
	v_cmp_ne_u32_e64 s0, v14, v25
	v_cvt_f64_f32_e32 v[22:23], v22
	v_bfe_u32 v25, v21, 20, 11
	v_fma_f16 v3, v133, v26, -v3
	v_and_or_b32 v0, 0x8000, v12, v0
	v_cndmask_b32_e64 v14, 0, 1, s0
	v_cmp_ne_u32_e64 s0, 0, v20
	v_lshrrev_b32_e32 v21, 16, v21
	v_cvt_f32_f16_e32 v3, v3
	v_lshl_or_b32 v0, v0, 16, v10
	v_or_b32_e32 v12, v29, v14
	v_cndmask_b32_e64 v20, 0, 1, s0
	v_lshl_or_b32 v14, v27, 12, v16
	v_cmp_gt_i32_e64 s0, 1, v27
	v_and_or_b32 v20, 0xffe, v24, v20
	v_sub_nc_u32_e32 v24, 0x3f1, v25
	v_cndmask_b32_e64 v12, v14, v12, s0
	v_add_co_u32 v18, s0, v18, s6
	v_or_b32_e32 v14, 0x1000, v20
	v_med3_i32 v24, v24, 0, 13
	v_and_b32_e32 v7, 7, v12
	v_mul_f64 v[22:23], v[22:23], s[4:5]
	v_add_co_ci_u32_e64 v19, s0, s7, v19, s0
	v_lshrrev_b32_e32 v10, v24, v14
	v_cmp_lt_i32_e64 s0, 5, v7
	v_cmp_eq_u32_e64 s1, 3, v7
	v_lshrrev_b32_e32 v7, 2, v12
	global_store_dword v[18:19], v0, off
	v_lshlrev_b32_e32 v24, v24, v10
	s_or_b32 s0, s1, s0
	v_cmp_ne_u32_e64 s2, v24, v14
	v_add_nc_u32_e32 v14, 0xfffffc10, v25
	v_cvt_f64_f32_e32 v[24:25], v3
	v_add_co_ci_u32_e64 v3, s0, 0, v7, s0
	v_cmp_ne_u32_e64 s0, 0, v16
	v_cndmask_b32_e64 v12, 0, 1, s2
	v_lshl_or_b32 v16, v14, 12, v20
	v_and_or_b32 v22, 0x1ff, v23, v22
	v_cndmask_b32_e64 v7, 0, 1, s0
	v_cmp_gt_i32_e64 s0, 31, v27
	v_or_b32_e32 v12, v10, v12
	ds_read2_b32 v[9:10], v9 offset0:70 offset1:160
	v_bfe_u32 v26, v23, 20, 11
	v_lshl_or_b32 v7, v7, 9, 0x7c00
	v_cndmask_b32_e64 v3, 0x7c00, v3, s0
	v_cmp_gt_i32_e64 s0, 1, v14
	v_cndmask_b32_e64 v12, v16, v12, s0
	v_cmp_ne_u32_e64 s0, 0, v22
	v_lshrrev_b32_e32 v22, 8, v23
	v_mul_f64 v[24:25], v[24:25], s[4:5]
	v_cndmask_b32_e64 v16, 0, 1, s0
	v_cmp_eq_u32_e64 s0, 0x40f, v27
	v_and_or_b32 v22, 0xffe, v22, v16
	v_cndmask_b32_e64 v3, v3, v7, s0
	v_and_b32_e32 v7, 7, v12
	v_sub_nc_u32_e32 v16, 0x3f1, v26
	s_waitcnt lgkmcnt(0)
	v_lshrrev_b32_e32 v28, 16, v9
	v_or_b32_e32 v27, 0x1000, v22
	v_and_or_b32 v3, 0x8000, v17, v3
	v_cmp_lt_i32_e64 s0, 5, v7
	v_cmp_eq_u32_e64 s1, 3, v7
	v_lshrrev_b32_e32 v7, 2, v12
	v_med3_i32 v16, v16, 0, 13
	v_mul_f16_sdwa v12, v132, v28 dst_sel:DWORD dst_unused:UNUSED_PAD src0_sel:WORD_1 src1_sel:DWORD
	v_add_nc_u32_e32 v26, 0xfffffc10, v26
	s_or_b32 s0, s1, s0
	v_bfe_u32 v30, v25, 20, 11
	v_add_co_ci_u32_e64 v7, s0, 0, v7, s0
	v_lshrrev_b32_e32 v29, v16, v27
	v_cmp_ne_u32_e64 s0, 0, v20
	v_fmac_f16_e32 v12, v132, v9
	v_and_or_b32 v20, 0x1ff, v25, v24
	v_and_b32_e32 v3, 0xffff, v3
	v_lshlrev_b32_e32 v16, v16, v29
	v_cndmask_b32_e64 v17, 0, 1, s0
	v_cmp_gt_i32_e64 s0, 31, v14
	v_cvt_f32_f16_e32 v12, v12
	v_mul_f16_sdwa v9, v132, v9 dst_sel:DWORD dst_unused:UNUSED_PAD src0_sel:WORD_1 src1_sel:DWORD
	v_lshl_or_b32 v24, v17, 9, 0x7c00
	v_cndmask_b32_e64 v7, 0x7c00, v7, s0
	v_cmp_ne_u32_e64 s0, v16, v27
	v_cvt_f64_f32_e32 v[16:17], v12
	v_fma_f16 v9, v132, v28, -v9
	v_cndmask_b32_e64 v27, 0, 1, s0
	v_cmp_ne_u32_e64 s0, 0, v20
	v_lshrrev_b32_e32 v20, 8, v25
	v_cvt_f32_f16_e32 v9, v9
	v_cndmask_b32_e64 v12, 0, 1, s0
	v_cmp_eq_u32_e64 s0, 0x40f, v14
	v_and_or_b32 v14, 0xffe, v20, v12
	v_sub_nc_u32_e32 v12, 0x3f1, v30
	v_cndmask_b32_e64 v7, v7, v24, s0
	v_or_b32_e32 v20, v29, v27
	v_lshl_or_b32 v24, v26, 12, v22
	v_cmp_gt_i32_e64 s0, 1, v26
	v_or_b32_e32 v27, 0x1000, v14
	v_med3_i32 v12, v12, 0, 13
	v_and_or_b32 v0, 0x8000, v21, v7
	v_mul_f64 v[16:17], v[16:17], s[4:5]
	v_cndmask_b32_e64 v20, v24, v20, s0
	v_add_nc_u32_e32 v24, 0xfffffc10, v30
	v_lshrrev_b32_e32 v7, v12, v27
	v_lshl_or_b32 v0, v0, 16, v3
	v_and_b32_e32 v21, 7, v20
	v_lshlrev_b32_e32 v3, v12, v7
	v_lshrrev_b32_e32 v12, 2, v20
	v_cmp_lt_i32_e64 s0, 5, v21
	v_cmp_eq_u32_e64 s1, 3, v21
	v_cmp_ne_u32_e64 s2, v3, v27
	v_cvt_f64_f32_e32 v[20:21], v9
	s_or_b32 s0, s1, s0
	v_cndmask_b32_e64 v3, 0, 1, s2
	v_add_co_ci_u32_e64 v27, s0, 0, v12, s0
	v_cmp_ne_u32_e64 s0, 0, v22
	ds_read2_b32 v[11:12], v11 offset0:39 offset1:129
	v_or_b32_e32 v3, v7, v3
	v_lshl_or_b32 v7, v24, 12, v14
	v_bfe_u32 v28, v17, 20, 11
	v_cndmask_b32_e64 v9, 0, 1, s0
	v_cmp_gt_i32_e64 s0, 1, v24
	v_lshl_or_b32 v9, v9, 9, 0x7c00
	v_cndmask_b32_e64 v3, v7, v3, s0
	v_and_or_b32 v7, 0x1ff, v17, v16
	v_cmp_gt_i32_e64 s0, 31, v26
	v_mul_f64 v[20:21], v[20:21], s[4:5]
	v_and_b32_e32 v22, 7, v3
	v_lshrrev_b32_e32 v3, 2, v3
	v_cndmask_b32_e64 v16, 0x7c00, v27, s0
	v_cmp_ne_u32_e64 s0, 0, v7
	v_lshrrev_b32_e32 v27, 8, v17
	v_cmp_eq_u32_e64 s1, 3, v22
	v_cndmask_b32_e64 v7, 0, 1, s0
	v_cmp_eq_u32_e64 s0, 0x40f, v26
	s_waitcnt lgkmcnt(0)
	v_lshrrev_b32_e32 v26, 16, v11
	v_and_or_b32 v29, 0xffe, v27, v7
	v_cndmask_b32_e64 v9, v16, v9, s0
	v_cmp_lt_i32_e64 s0, 5, v22
	v_sub_nc_u32_e32 v7, 0x3f1, v28
	v_lshrrev_b32_e32 v16, 16, v23
	v_or_b32_e32 v22, 0x1000, v29
	v_mul_f16_sdwa v23, v131, v26 dst_sel:DWORD dst_unused:UNUSED_PAD src0_sel:WORD_1 src1_sel:DWORD
	s_or_b32 s0, s1, s0
	v_med3_i32 v7, v7, 0, 13
	v_add_co_ci_u32_e64 v3, s0, 0, v3, s0
	v_cmp_ne_u32_e64 s0, 0, v14
	v_fmac_f16_e32 v23, v131, v11
	v_lshrrev_b32_e32 v27, v7, v22
	v_and_or_b32 v20, 0x1ff, v21, v20
	v_and_or_b32 v9, 0x8000, v16, v9
	v_cndmask_b32_e64 v14, 0, 1, s0
	v_cmp_gt_i32_e64 s0, 31, v24
	v_lshlrev_b32_e32 v7, v7, v27
	v_cvt_f32_f16_e32 v16, v23
	v_add_nc_u32_e32 v28, 0xfffffc10, v28
	v_lshl_or_b32 v14, v14, 9, 0x7c00
	v_cndmask_b32_e64 v3, 0x7c00, v3, s0
	v_cmp_eq_u32_e64 s0, 0x40f, v24
	v_bfe_u32 v30, v21, 20, 11
	v_and_b32_e32 v9, 0xffff, v9
	v_mul_f16_sdwa v11, v131, v11 dst_sel:DWORD dst_unused:UNUSED_PAD src0_sel:WORD_1 src1_sel:DWORD
	v_cndmask_b32_e64 v3, v3, v14, s0
	v_cmp_ne_u32_e64 s0, v7, v22
	v_cvt_f64_f32_e32 v[22:23], v16
	v_lshrrev_b32_e32 v14, 16, v25
	v_cndmask_b32_e64 v7, 0, 1, s0
	v_cmp_ne_u32_e64 s0, 0, v20
	v_lshrrev_b32_e32 v20, 8, v21
	v_and_or_b32 v3, 0x8000, v14, v3
	v_lshl_or_b32 v14, v28, 12, v29
	v_or_b32_e32 v7, v27, v7
	v_cndmask_b32_e64 v16, 0, 1, s0
	v_cmp_gt_i32_e64 s0, 1, v28
	v_lshl_or_b32 v3, v3, 16, v9
	v_and_or_b32 v20, 0xffe, v20, v16
	v_sub_nc_u32_e32 v16, 0x3f1, v30
	v_cndmask_b32_e64 v7, v14, v7, s0
	v_add_co_u32 v18, s0, v18, s6
	v_or_b32_e32 v14, 0x1000, v20
	v_med3_i32 v16, v16, 0, 13
	v_add_co_ci_u32_e64 v19, s0, s7, v19, s0
	v_and_b32_e32 v9, 7, v7
	v_mul_f64 v[22:23], v[22:23], s[4:5]
	v_lshrrev_b32_e32 v27, v16, v14
	v_add_co_u32 v24, s0, v18, s6
	v_add_co_ci_u32_e64 v25, s0, s7, v19, s0
	v_lshlrev_b32_e32 v16, v16, v27
	v_cmp_lt_i32_e64 s0, 5, v9
	v_cmp_eq_u32_e64 s1, 3, v9
	v_fma_f16 v9, v131, v26, -v11
	v_lshrrev_b32_e32 v7, 2, v7
	v_cmp_ne_u32_e64 s2, v16, v14
	v_add_nc_u32_e32 v14, 0xfffffc10, v30
	s_or_b32 s0, s1, s0
	v_cvt_f32_f16_e32 v9, v9
	v_add_co_ci_u32_e64 v16, s0, 0, v7, s0
	v_cndmask_b32_e64 v11, 0, 1, s2
	v_cmp_ne_u32_e64 s0, 0, v29
	ds_read2_b32 v[6:7], v6 offset0:8 offset1:98
	global_store_dword v[18:19], v0, off
	global_store_dword v[24:25], v3, off
	v_or_b32_e32 v11, v27, v11
	v_cvt_f64_f32_e32 v[26:27], v9
	v_lshl_or_b32 v9, v14, 12, v20
	v_cndmask_b32_e64 v29, 0, 1, s0
	v_cmp_gt_i32_e64 s0, 1, v14
	v_lshrrev_b32_e32 v30, 8, v23
	v_bfe_u32 v31, v23, 20, 11
	v_cndmask_b32_e64 v9, v9, v11, s0
	v_and_or_b32 v11, 0x1ff, v23, v22
	v_cmp_gt_i32_e64 s0, 31, v28
	v_lshl_or_b32 v22, v29, 9, 0x7c00
	v_and_b32_e32 v29, 7, v9
	v_lshrrev_b32_e32 v9, 2, v9
	v_cndmask_b32_e64 v16, 0x7c00, v16, s0
	v_cmp_ne_u32_e64 s0, 0, v11
	v_cmp_eq_u32_e64 s1, 3, v29
	v_cndmask_b32_e64 v11, 0, 1, s0
	v_cmp_eq_u32_e64 s0, 0x40f, v28
	v_lshrrev_b32_e32 v28, 16, v17
	v_and_or_b32 v11, 0xffe, v30, v11
	v_cndmask_b32_e64 v22, v16, v22, s0
	v_cmp_lt_i32_e64 s0, 5, v29
	v_mul_f64 v[16:17], v[26:27], s[4:5]
	v_sub_nc_u32_e32 v30, 0x3f1, v31
	v_or_b32_e32 v27, 0x1000, v11
	s_waitcnt lgkmcnt(0)
	v_lshrrev_b32_e32 v26, 16, v6
	s_or_b32 s0, s1, s0
	v_and_or_b32 v22, 0x8000, v28, v22
	v_add_co_ci_u32_e64 v9, s0, 0, v9, s0
	v_med3_i32 v29, v30, 0, 13
	v_cmp_ne_u32_e64 s0, 0, v20
	v_mul_f16_sdwa v30, v130, v26 dst_sel:DWORD dst_unused:UNUSED_PAD src0_sel:WORD_1 src1_sel:DWORD
	v_and_b32_e32 v22, 0xffff, v22
	v_lshrrev_b32_e32 v32, v29, v27
	v_cndmask_b32_e64 v20, 0, 1, s0
	v_cmp_gt_i32_e64 s0, 31, v14
	v_fmac_f16_e32 v30, v130, v6
	v_mul_f16_sdwa v6, v130, v6 dst_sel:DWORD dst_unused:UNUSED_PAD src0_sel:WORD_1 src1_sel:DWORD
	v_lshlrev_b32_e32 v28, v29, v32
	v_lshl_or_b32 v20, v20, 9, 0x7c00
	v_cndmask_b32_e64 v9, 0x7c00, v9, s0
	v_cmp_eq_u32_e64 s0, 0x40f, v14
	v_and_or_b32 v16, 0x1ff, v17, v16
	v_cvt_f32_f16_e32 v29, v30
	v_lshrrev_b32_e32 v14, 16, v21
	v_bfe_u32 v30, v17, 20, 11
	v_cndmask_b32_e64 v9, v9, v20, s0
	v_cmp_ne_u32_e64 s0, v28, v27
	v_cvt_f64_f32_e32 v[20:21], v29
	v_add_nc_u32_e32 v28, 0xfffffc10, v31
	v_lshrrev_b32_e32 v29, 8, v17
	v_and_or_b32 v9, 0x8000, v14, v9
	v_cndmask_b32_e64 v27, 0, 1, s0
	v_cmp_ne_u32_e64 s0, 0, v16
	v_lshl_or_b32 v0, v9, 16, v22
	v_or_b32_e32 v14, v32, v27
	v_cndmask_b32_e64 v16, 0, 1, s0
	v_lshl_or_b32 v27, v28, 12, v11
	v_cmp_gt_i32_e64 s0, 1, v28
	v_and_or_b32 v16, 0xffe, v29, v16
	v_sub_nc_u32_e32 v29, 0x3f1, v30
	v_cndmask_b32_e64 v14, v27, v14, s0
	v_or_b32_e32 v27, 0x1000, v16
	v_med3_i32 v29, v29, 0, 13
	v_and_b32_e32 v3, 7, v14
	v_mul_f64 v[18:19], v[20:21], s[4:5]
	v_add_co_u32 v20, s0, v24, s6
	v_lshrrev_b32_e32 v9, v29, v27
	v_add_co_ci_u32_e64 v21, s0, s7, v25, s0
	v_cmp_lt_i32_e64 s0, 5, v3
	v_cmp_eq_u32_e64 s1, 3, v3
	v_lshlrev_b32_e32 v22, v29, v9
	v_fma_f16 v3, v130, v26, -v6
	v_lshrrev_b32_e32 v6, 2, v14
	v_add_nc_u32_e32 v26, 0xfffffc10, v30
	s_or_b32 s0, s1, s0
	v_cmp_ne_u32_e64 s2, v22, v27
	v_cvt_f32_f16_e32 v3, v3
	v_add_co_ci_u32_e64 v6, s0, 0, v6, s0
	v_cmp_ne_u32_e64 s0, 0, v11
	v_cndmask_b32_e64 v14, 0, 1, s2
	v_cvt_f64_f32_e32 v[24:25], v3
	v_lshl_or_b32 v3, v26, 12, v16
	global_store_dword v[20:21], v0, off
	v_cndmask_b32_e64 v11, 0, 1, s0
	v_or_b32_e32 v9, v9, v14
	v_cmp_gt_i32_e64 s0, 1, v26
	ds_read2_b32 v[13:14], v13 offset0:105 offset1:195
	v_lshrrev_b32_e32 v22, 8, v19
	v_lshl_or_b32 v11, v11, 9, 0x7c00
	v_bfe_u32 v27, v19, 20, 11
	v_cndmask_b32_e64 v3, v3, v9, s0
	v_and_or_b32 v9, 0x1ff, v19, v18
	v_cmp_gt_i32_e64 s0, 31, v28
	v_lshrrev_b32_e32 v19, 16, v19
	v_and_b32_e32 v18, 7, v3
	v_lshrrev_b32_e32 v3, 2, v3
	v_cndmask_b32_e64 v6, 0x7c00, v6, s0
	v_cmp_ne_u32_e64 s0, 0, v9
	v_cmp_eq_u32_e64 s1, 3, v18
	v_cndmask_b32_e64 v9, 0, 1, s0
	v_cmp_eq_u32_e64 s0, 0x40f, v28
	v_sub_nc_u32_e32 v28, 0x3f1, v27
	s_waitcnt lgkmcnt(0)
	v_mul_f16_sdwa v0, v129, v13 dst_sel:DWORD dst_unused:UNUSED_PAD src0_sel:WORD_1 src1_sel:DWORD
	v_and_or_b32 v9, 0xffe, v22, v9
	v_cndmask_b32_e64 v6, v6, v11, s0
	v_cmp_lt_i32_e64 s0, 5, v18
	v_lshrrev_b32_e32 v11, 16, v23
	v_mul_f64 v[22:23], v[24:25], s[4:5]
	v_lshrrev_b32_e32 v24, 16, v13
	v_or_b32_e32 v18, 0x1000, v9
	s_or_b32 s0, s1, s0
	v_med3_i32 v25, v28, 0, 13
	v_add_co_ci_u32_e64 v3, s0, 0, v3, s0
	v_cmp_ne_u32_e64 s0, 0, v16
	v_mul_f16_sdwa v28, v129, v24 dst_sel:DWORD dst_unused:UNUSED_PAD src0_sel:WORD_1 src1_sel:DWORD
	v_lshrrev_b32_e32 v29, v25, v18
	v_and_or_b32 v6, 0x8000, v11, v6
	v_fma_f16 v0, v129, v24, -v0
	v_cndmask_b32_e64 v16, 0, 1, s0
	v_cmp_gt_i32_e64 s0, 31, v26
	v_fmac_f16_e32 v28, v129, v13
	v_lshlrev_b32_e32 v11, v25, v29
	v_and_b32_e32 v6, 0xffff, v6
	v_lshl_or_b32 v16, v16, 9, 0x7c00
	v_cndmask_b32_e64 v3, 0x7c00, v3, s0
	v_cmp_eq_u32_e64 s0, 0x40f, v26
	v_cvt_f32_f16_e32 v25, v28
	v_lshrrev_b32_e32 v26, 16, v17
	v_and_or_b32 v22, 0x1ff, v23, v22
	v_cvt_f32_f16_e32 v0, v0
	v_cndmask_b32_e64 v3, v3, v16, s0
	v_cmp_ne_u32_e64 s0, v11, v18
	v_cvt_f64_f32_e32 v[16:17], v25
	v_add_nc_u32_e32 v18, 0xfffffc10, v27
	v_lshrrev_b32_e32 v25, 8, v23
	v_bfe_u32 v27, v23, 20, 11
	v_cndmask_b32_e64 v11, 0, 1, s0
	v_cmp_ne_u32_e64 s0, 0, v22
	v_and_or_b32 v3, 0x8000, v26, v3
	v_lshl_or_b32 v26, v18, 12, v9
	v_lshrrev_b32_e32 v23, 16, v23
	v_or_b32_e32 v11, v29, v11
	v_cndmask_b32_e64 v22, 0, 1, s0
	v_cmp_gt_i32_e64 s0, 1, v18
	v_lshl_or_b32 v3, v3, 16, v6
	v_mul_f16_sdwa v29, v128, v15 dst_sel:DWORD dst_unused:UNUSED_PAD src0_sel:WORD_1 src1_sel:DWORD
	v_and_or_b32 v22, 0xffe, v25, v22
	v_sub_nc_u32_e32 v25, 0x3f1, v27
	v_cndmask_b32_e64 v11, v26, v11, s0
	v_add_co_u32 v20, s0, v20, s6
	v_or_b32_e32 v26, 0x1000, v22
	v_med3_i32 v25, v25, 0, 13
	v_and_b32_e32 v6, 7, v11
	v_mul_f64 v[16:17], v[16:17], s[4:5]
	v_add_co_ci_u32_e64 v21, s0, s7, v21, s0
	v_lshrrev_b32_e32 v13, v25, v26
	v_cmp_lt_i32_e64 s0, 5, v6
	v_cmp_eq_u32_e64 s1, 3, v6
	v_lshrrev_b32_e32 v6, 2, v11
	global_store_dword v[20:21], v3, off
	v_lshlrev_b32_e32 v24, v25, v13
	s_or_b32 s0, s1, s0
	v_cmp_ne_u32_e64 s2, v24, v26
	v_cvt_f64_f32_e32 v[24:25], v0
	v_add_co_ci_u32_e64 v0, s0, 0, v6, s0
	v_cmp_ne_u32_e64 s0, 0, v9
	v_cndmask_b32_e64 v11, 0, 1, s2
	v_add_nc_u32_e32 v26, 0xfffffc10, v27
	v_cndmask_b32_e64 v6, 0, 1, s0
	v_cmp_gt_i32_e64 s0, 31, v18
	v_or_b32_e32 v9, v13, v11
	v_lshl_or_b32 v11, v26, 12, v22
	v_and_or_b32 v13, 0x1ff, v17, v16
	v_lshl_or_b32 v6, v6, 9, 0x7c00
	v_cndmask_b32_e64 v0, 0x7c00, v0, s0
	v_cmp_gt_i32_e64 s0, 1, v26
	v_cndmask_b32_e64 v9, v11, v9, s0
	v_cmp_ne_u32_e64 s0, 0, v13
	v_lshrrev_b32_e32 v13, 8, v17
	v_mul_f64 v[24:25], v[24:25], s[4:5]
	v_and_b32_e32 v16, 7, v9
	v_cndmask_b32_e64 v11, 0, 1, s0
	v_cmp_eq_u32_e64 s0, 0x40f, v18
	v_lshrrev_b32_e32 v9, 2, v9
	v_cmp_eq_u32_e64 s1, 3, v16
	v_and_or_b32 v11, 0xffe, v13, v11
	v_cndmask_b32_e64 v0, v0, v6, s0
	v_bfe_u32 v6, v17, 20, 11
	v_lshrrev_b32_e32 v13, 16, v15
	v_cmp_lt_i32_e64 s0, 5, v16
	v_or_b32_e32 v27, 0x1000, v11
	v_and_or_b32 v0, 0x8000, v19, v0
	v_sub_nc_u32_e32 v18, 0x3f1, v6
	v_mul_f16_sdwa v28, v128, v13 dst_sel:DWORD dst_unused:UNUSED_PAD src0_sel:WORD_1 src1_sel:DWORD
	s_or_b32 s0, s1, s0
	v_add_nc_u32_e32 v6, 0xfffffc10, v6
	v_add_co_ci_u32_e64 v9, s0, 0, v9, s0
	v_med3_i32 v18, v18, 0, 13
	v_fmac_f16_e32 v28, v128, v15
	v_cmp_ne_u32_e64 s0, 0, v22
	v_and_or_b32 v24, 0x1ff, v25, v24
	v_and_b32_e32 v0, 0xffff, v0
	v_lshrrev_b32_e32 v16, v18, v27
	v_cvt_f32_f16_e32 v19, v28
	v_cndmask_b32_e64 v22, 0, 1, s0
	v_cmp_gt_i32_e64 s0, 31, v26
	v_fma_f16 v13, v128, v13, -v29
	v_lshlrev_b32_e32 v28, v18, v16
	v_cvt_f64_f32_e32 v[18:19], v19
	v_lshl_or_b32 v22, v22, 9, 0x7c00
	v_cndmask_b32_e64 v9, 0x7c00, v9, s0
	v_cvt_f32_f16_e32 v3, v13
	v_cmp_ne_u32_e64 s0, v28, v27
	v_lshrrev_b32_e32 v28, 8, v25
	v_cndmask_b32_e64 v27, 0, 1, s0
	v_cmp_ne_u32_e64 s0, 0, v24
	v_or_b32_e32 v16, v16, v27
	v_cndmask_b32_e64 v24, 0, 1, s0
	v_cmp_eq_u32_e64 s0, 0x40f, v26
	v_lshl_or_b32 v26, v6, 12, v11
	v_and_or_b32 v24, 0xffe, v28, v24
	v_cndmask_b32_e64 v9, v9, v22, s0
	v_bfe_u32 v22, v25, 20, 11
	v_cmp_gt_i32_e64 s0, 1, v6
	v_or_b32_e32 v28, 0x1000, v24
	v_and_or_b32 v9, 0x8000, v23, v9
	v_sub_nc_u32_e32 v27, 0x3f1, v22
	v_cndmask_b32_e64 v26, v26, v16, s0
	v_mul_f64 v[15:16], v[18:19], s[4:5]
	v_lshl_or_b32 v0, v9, 16, v0
	v_med3_i32 v27, v27, 0, 13
	v_and_b32_e32 v18, 7, v26
	v_lshrrev_b32_e32 v13, 2, v26
	v_lshrrev_b32_e32 v23, v27, v28
	v_cmp_lt_i32_e64 s0, 5, v18
	v_cmp_eq_u32_e64 s1, 3, v18
	v_cvt_f64_f32_e32 v[18:19], v3
	v_lshlrev_b32_e32 v9, v27, v23
	s_or_b32 s0, s1, s0
	v_add_co_ci_u32_e64 v13, s0, 0, v13, s0
	v_cmp_ne_u32_e64 s2, v9, v28
	v_add_nc_u32_e32 v9, 0xfffffc10, v22
	v_cmp_gt_i32_e64 s0, 31, v6
	v_and_or_b32 v15, 0x1ff, v16, v15
	v_cndmask_b32_e64 v3, 0, 1, s2
	v_lshl_or_b32 v22, v9, 12, v24
	v_cndmask_b32_e64 v13, 0x7c00, v13, s0
	v_cmp_gt_i32_e64 s0, 1, v9
	v_cmp_eq_u32_e64 s2, 0x40f, v6
	v_or_b32_e32 v3, v23, v3
	v_bfe_u32 v23, v16, 20, 11
	v_mul_f64 v[18:19], v[18:19], s[4:5]
	v_cndmask_b32_e64 v3, v22, v3, s0
	v_cmp_ne_u32_e64 s0, 0, v15
	v_lshrrev_b32_e32 v22, 8, v16
	v_and_b32_e32 v26, 7, v3
	v_cndmask_b32_e64 v15, 0, 1, s0
	v_cmp_ne_u32_e64 s0, 0, v11
	v_lshrrev_b32_e32 v3, 2, v3
	v_cmp_eq_u32_e64 s1, 3, v26
	v_and_or_b32 v15, 0xffe, v22, v15
	v_cndmask_b32_e64 v11, 0, 1, s0
	v_sub_nc_u32_e32 v22, 0x3f1, v23
	v_cmp_lt_i32_e64 s0, 5, v26
	v_add_nc_u32_e32 v23, 0xfffffc10, v23
	v_or_b32_e32 v26, 0x1000, v15
	v_lshl_or_b32 v11, v11, 9, 0x7c00
	v_med3_i32 v22, v22, 0, 13
	s_or_b32 s0, s1, s0
	v_add_co_ci_u32_e64 v3, s0, 0, v3, s0
	v_cndmask_b32_e64 v6, v13, v11, s2
	v_lshrrev_b32_e32 v11, 16, v17
	v_lshrrev_b32_e32 v13, v22, v26
	v_cmp_ne_u32_e64 s0, 0, v24
	v_lshrrev_b32_e32 v24, 16, v2
	v_bfe_u32 v27, v19, 20, 11
	v_and_or_b32 v6, 0x8000, v11, v6
	v_lshlrev_b32_e32 v11, v22, v13
	v_cndmask_b32_e64 v17, 0, 1, s0
	v_cmp_gt_i32_e64 s0, 31, v9
	v_and_b32_e32 v6, 0xffff, v6
	v_lshl_or_b32 v22, v17, 9, 0x7c00
	v_cndmask_b32_e64 v3, 0x7c00, v3, s0
	v_and_or_b32 v17, 0x1ff, v19, v18
	v_cmp_ne_u32_e64 s0, v11, v26
	v_mul_f16_sdwa v18, v127, v24 dst_sel:DWORD dst_unused:UNUSED_PAD src0_sel:WORD_1 src1_sel:DWORD
	v_lshrrev_b32_e32 v26, 8, v19
	v_cndmask_b32_e64 v11, 0, 1, s0
	v_cmp_ne_u32_e64 s0, 0, v17
	v_fmac_f16_e32 v18, v127, v2
	v_or_b32_e32 v11, v13, v11
	v_cndmask_b32_e64 v17, 0, 1, s0
	v_cvt_f32_f16_e32 v18, v18
	v_lshl_or_b32 v13, v23, 12, v15
	v_cmp_gt_i32_e64 s0, 1, v23
	v_and_or_b32 v26, 0xffe, v26, v17
	v_sub_nc_u32_e32 v17, 0x3f1, v27
	v_cndmask_b32_e64 v11, v13, v11, s0
	v_cmp_eq_u32_e64 s0, 0x40f, v9
	v_or_b32_e32 v13, 0x1000, v26
	v_med3_i32 v28, v17, 0, 13
	v_cvt_f64_f32_e32 v[17:18], v18
	v_lshrrev_b32_e32 v9, 16, v25
	v_cndmask_b32_e64 v3, v3, v22, s0
	v_and_b32_e32 v22, 7, v11
	v_lshrrev_b32_e32 v25, v28, v13
	v_add_co_u32 v20, s0, v20, s6
	v_and_or_b32 v9, 0x8000, v9, v3
	v_add_co_ci_u32_e64 v21, s0, s7, v21, s0
	v_lshlrev_b32_e32 v3, v28, v25
	v_cmp_lt_i32_e64 s0, 5, v22
	v_cmp_eq_u32_e64 s1, 3, v22
	v_lshrrev_b32_e32 v11, 2, v11
	v_add_nc_u32_e32 v22, 0xfffffc10, v27
	v_cmp_ne_u32_e64 s2, v3, v13
	v_mul_f16_sdwa v27, v127, v2 dst_sel:DWORD dst_unused:UNUSED_PAD src0_sel:WORD_1 src1_sel:DWORD
	s_or_b32 s0, s1, s0
	global_store_dword v[20:21], v0, off
	v_add_co_ci_u32_e64 v11, s0, 0, v11, s0
	v_cndmask_b32_e64 v13, 0, 1, s2
	v_mul_f64 v[2:3], v[17:18], s[4:5]
	v_fma_f16 v17, v127, v24, -v27
	v_cmp_ne_u32_e64 s0, 0, v15
	v_lshl_or_b32 v18, v22, 12, v26
	v_or_b32_e32 v13, v25, v13
	v_lshl_or_b32 v0, v9, 16, v6
	v_cvt_f32_f16_e32 v17, v17
	v_cndmask_b32_e64 v15, 0, 1, s0
	v_cmp_gt_i32_e64 s0, 1, v22
	v_lshrrev_b32_e32 v9, 16, v16
	v_lshl_or_b32 v15, v15, 9, 0x7c00
	v_cndmask_b32_e64 v13, v18, v13, s0
	v_cmp_gt_i32_e64 s0, 31, v23
	v_cvt_f64_f32_e32 v[17:18], v17
	v_and_b32_e32 v24, 7, v13
	v_cndmask_b32_e64 v11, 0x7c00, v11, s0
	v_cmp_eq_u32_e64 s0, 0x40f, v23
	v_and_or_b32 v2, 0x1ff, v3, v2
	v_cmp_eq_u32_e64 s1, 3, v24
	v_lshrrev_b32_e32 v25, 8, v3
	v_cndmask_b32_e64 v6, v11, v15, s0
	v_cmp_lt_i32_e64 s0, 5, v24
	v_lshrrev_b32_e32 v11, 2, v13
	v_lshrrev_b32_e32 v13, 16, v8
	v_and_or_b32 v6, 0x8000, v9, v6
	s_or_b32 s0, s1, s0
	s_mul_i32 s1, s9, 0xfffff871
	v_add_co_ci_u32_e64 v11, s0, 0, v11, s0
	v_cmp_ne_u32_e64 s0, 0, v26
	v_mul_f16_sdwa v24, v126, v13 dst_sel:DWORD dst_unused:UNUSED_PAD src0_sel:WORD_1 src1_sel:DWORD
	v_mul_f64 v[15:16], v[17:18], s[4:5]
	v_bfe_u32 v26, v3, 20, 11
	v_and_b32_e32 v6, 0xffff, v6
	v_cndmask_b32_e64 v23, 0, 1, s0
	v_cmp_ne_u32_e64 s0, 0, v2
	v_fmac_f16_e32 v24, v126, v8
	v_sub_nc_u32_e32 v18, 0x3f1, v26
	v_mul_f16_sdwa v8, v126, v8 dst_sel:DWORD dst_unused:UNUSED_PAD src0_sel:WORD_1 src1_sel:DWORD
	v_lshl_or_b32 v17, v23, 9, 0x7c00
	v_cndmask_b32_e64 v2, 0, 1, s0
	v_cmp_gt_i32_e64 s0, 31, v22
	v_cvt_f32_f16_e32 v23, v24
	v_and_or_b32 v2, 0xffe, v25, v2
	v_cndmask_b32_e64 v11, 0x7c00, v11, s0
	v_cmp_eq_u32_e64 s0, 0x40f, v22
	v_med3_i32 v25, v18, 0, 13
	v_lshrrev_b32_e32 v22, 16, v19
	v_or_b32_e32 v24, 0x1000, v2
	v_cndmask_b32_e64 v11, v11, v17, s0
	v_cvt_f64_f32_e32 v[17:18], v23
	v_add_co_u32 v19, s0, v20, s6
	v_and_or_b32 v15, 0x1ff, v16, v15
	v_and_or_b32 v9, 0x8000, v22, v11
	v_lshrrev_b32_e32 v11, v25, v24
	v_add_co_ci_u32_e64 v20, s0, s7, v21, s0
	s_mul_hi_u32 s0, s8, 0xfffff871
	v_lshrrev_b32_e32 v22, 8, v16
	s_sub_i32 s2, s0, s8
	v_lshlrev_b32_e32 v21, v25, v11
	v_cmp_ne_u32_e64 s0, 0, v15
	v_bfe_u32 v23, v16, 20, 11
	v_lshl_or_b32 v27, v9, 16, v6
	v_fma_f16 v6, v126, v13, -v8
	s_add_i32 s1, s2, s1
	v_cndmask_b32_e64 v15, 0, 1, s0
	v_cmp_ne_u32_e64 s0, v21, v24
	v_add_nc_u32_e32 v24, 0xfffffc10, v26
	v_cvt_f32_f16_e32 v6, v6
	global_store_dword v[19:20], v0, off
	v_mul_f64 v[17:18], v[17:18], s[4:5]
	v_cndmask_b32_e64 v21, 0, 1, s0
	v_and_or_b32 v15, 0xffe, v22, v15
	v_sub_nc_u32_e32 v22, 0x3f1, v23
	v_cmp_gt_i32_e64 s0, 1, v24
	v_add_nc_u32_e32 v23, 0xfffffc10, v23
	v_or_b32_e32 v11, v11, v21
	v_lshl_or_b32 v21, v24, 12, v2
	v_or_b32_e32 v25, 0x1000, v15
	v_med3_i32 v22, v22, 0, 13
	v_cndmask_b32_e64 v11, v21, v11, s0
	s_mul_i32 s0, s8, 0xfffff871
	v_lshrrev_b32_e32 v21, v22, v25
	s_lshl_b64 s[8:9], s[0:1], 2
	v_and_b32_e32 v26, 7, v11
	v_lshrrev_b32_e32 v11, 2, v11
	v_lshlrev_b32_e32 v8, v22, v21
	v_cmp_lt_i32_e64 s0, 5, v26
	v_cmp_eq_u32_e64 s1, 3, v26
	v_cmp_ne_u32_e64 s2, v8, v25
	v_cvt_f64_f32_e32 v[8:9], v6
	v_and_or_b32 v6, 0x1ff, v18, v17
	v_lshl_or_b32 v17, v23, 12, v15
	s_or_b32 s0, s1, s0
	v_cndmask_b32_e64 v13, 0, 1, s2
	v_add_co_ci_u32_e64 v11, s0, 0, v11, s0
	v_cmp_ne_u32_e64 s0, 0, v6
	v_bfe_u32 v22, v18, 20, 11
	v_or_b32_e32 v13, v21, v13
	v_lshrrev_b32_e32 v21, 8, v18
	v_lshrrev_b32_e32 v18, 16, v18
	v_cndmask_b32_e64 v6, 0, 1, s0
	v_cmp_ne_u32_e64 s0, 0, v2
	v_cndmask_b32_e64 v2, 0, 1, s0
	v_cmp_gt_i32_e64 s0, 1, v23
	v_mul_f64 v[8:9], v[8:9], s[4:5]
	v_lshl_or_b32 v2, v2, 9, 0x7c00
	v_cndmask_b32_e64 v13, v17, v13, s0
	v_cmp_gt_i32_e64 s0, 31, v24
	v_and_or_b32 v17, 0xffe, v21, v6
	v_and_b32_e32 v21, 7, v13
	v_cndmask_b32_e64 v6, 0x7c00, v11, s0
	v_sub_nc_u32_e32 v11, 0x3f1, v22
	v_or_b32_e32 v25, 0x1000, v17
	v_cmp_eq_u32_e64 s0, 0x40f, v24
	v_lshrrev_b32_e32 v24, 16, v3
	v_cmp_eq_u32_e64 s1, 3, v21
	v_med3_i32 v11, v11, 0, 13
	v_lshrrev_b32_e32 v13, 2, v13
	v_cndmask_b32_e64 v6, v6, v2, s0
	v_cmp_lt_i32_e64 s0, 5, v21
	v_add_co_u32 v2, s2, v19, s8
	v_lshrrev_b32_e32 v21, v11, v25
	v_and_or_b32 v24, 0x8000, v24, v6
	s_or_b32 s0, s1, s0
	v_and_or_b32 v8, 0x1ff, v9, v8
	v_lshrrev_b32_e32 v26, 8, v9
	v_lshlrev_b32_e32 v6, v11, v21
	v_add_co_ci_u32_e64 v11, s0, 0, v13, s0
	v_lshrrev_b32_e32 v13, 16, v5
	v_bfe_u32 v28, v9, 20, 11
	v_cmp_ne_u32_e64 s0, v6, v25
	v_add_nc_u32_e32 v25, 0xfffffc10, v22
	v_add_co_ci_u32_e64 v3, s2, s9, v20, s2
	v_mul_f16_sdwa v22, v125, v13 dst_sel:DWORD dst_unused:UNUSED_PAD src0_sel:WORD_1 src1_sel:DWORD
	v_cndmask_b32_e64 v6, 0, 1, s0
	v_cmp_ne_u32_e64 s0, 0, v15
	v_and_b32_e32 v24, 0xffff, v24
	v_lshrrev_b32_e32 v9, 16, v9
	v_fmac_f16_e32 v22, v125, v5
	v_or_b32_e32 v6, v21, v6
	v_cndmask_b32_e64 v15, 0, 1, s0
	v_cmp_ne_u32_e64 s0, 0, v8
	v_lshl_or_b32 v21, v25, 12, v17
	v_cvt_f32_f16_e32 v22, v22
	v_mul_f16_sdwa v5, v125, v5 dst_sel:DWORD dst_unused:UNUSED_PAD src0_sel:WORD_1 src1_sel:DWORD
	v_lshl_or_b32 v15, v15, 9, 0x7c00
	v_cndmask_b32_e64 v8, 0, 1, s0
	v_cmp_gt_i32_e64 s0, 1, v25
	global_store_dword v[2:3], v27, off
	v_fma_f16 v5, v125, v13, -v5
	v_and_or_b32 v8, 0xffe, v26, v8
	v_cndmask_b32_e64 v6, v21, v6, s0
	v_cvt_f64_f32_e32 v[21:22], v22
	v_sub_nc_u32_e32 v26, 0x3f1, v28
	v_cmp_gt_i32_e64 s0, 31, v23
	v_or_b32_e32 v30, 0x1000, v8
	v_and_b32_e32 v29, 7, v6
	v_lshrrev_b32_e32 v6, 2, v6
	v_med3_i32 v26, v26, 0, 13
	v_cndmask_b32_e64 v11, 0x7c00, v11, s0
	v_cmp_eq_u32_e64 s0, 0x40f, v23
	v_cmp_eq_u32_e64 s1, 3, v29
	v_lshrrev_b32_e32 v23, v26, v30
	v_cndmask_b32_e64 v11, v11, v15, s0
	v_cmp_lt_i32_e64 s0, 5, v29
	v_lshrrev_b32_e32 v15, 16, v16
	v_lshlrev_b32_e32 v13, v26, v23
	s_or_b32 s0, s1, s0
	v_and_or_b32 v11, 0x8000, v15, v11
	v_add_co_ci_u32_e64 v26, s0, 0, v6, s0
	v_cvt_f32_f16_e32 v15, v5
	v_cmp_ne_u32_e64 s0, v13, v30
	v_mul_f64 v[5:6], v[21:22], s[4:5]
	v_add_nc_u32_e32 v21, 0xfffffc10, v28
	v_lshl_or_b32 v11, v11, 16, v24
	v_cvt_f64_f32_e32 v[15:16], v15
	v_cndmask_b32_e64 v13, 0, 1, s0
	v_cmp_ne_u32_e64 s0, 0, v17
	v_lshl_or_b32 v22, v21, 12, v8
	v_or_b32_e32 v13, v23, v13
	v_cndmask_b32_e64 v17, 0, 1, s0
	v_cmp_gt_i32_e64 s0, 31, v25
	v_lshl_or_b32 v17, v17, 9, 0x7c00
	v_cndmask_b32_e64 v23, 0x7c00, v26, s0
	v_cmp_gt_i32_e64 s0, 1, v21
	v_cndmask_b32_e64 v13, v22, v13, s0
	v_and_or_b32 v5, 0x1ff, v6, v5
	v_cmp_eq_u32_e64 s0, 0x40f, v25
	v_mul_f64 v[15:16], v[15:16], s[4:5]
	v_bfe_u32 v20, v6, 20, 11
	v_and_b32_e32 v0, 7, v13
	v_cmp_ne_u32_e64 s2, 0, v5
	v_cndmask_b32_e64 v17, v23, v17, s0
	v_lshrrev_b32_e32 v22, 16, v1
	v_cmp_lt_i32_e64 s0, 5, v0
	v_cmp_eq_u32_e64 s1, 3, v0
	v_lshrrev_b32_e32 v0, 2, v13
	v_cndmask_b32_e64 v5, 0, 1, s2
	v_lshrrev_b32_e32 v13, 8, v6
	v_and_or_b32 v19, 0x8000, v18, v17
	s_or_b32 s0, s1, s0
	v_mul_f16_sdwa v17, v124, v22 dst_sel:DWORD dst_unused:UNUSED_PAD src0_sel:WORD_1 src1_sel:DWORD
	v_add_co_ci_u32_e64 v0, s0, 0, v0, s0
	v_and_or_b32 v5, 0xffe, v13, v5
	v_sub_nc_u32_e32 v13, 0x3f1, v20
	v_cmp_ne_u32_e64 s0, 0, v8
	v_fmac_f16_e32 v17, v124, v1
	v_or_b32_e32 v23, 0x1000, v5
	v_med3_i32 v13, v13, 0, 13
	v_cndmask_b32_e64 v8, 0, 1, s0
	v_cmp_gt_i32_e64 s0, 31, v21
	v_and_or_b32 v15, 0x1ff, v16, v15
	v_bfe_u32 v25, v16, 20, 11
	v_lshrrev_b32_e32 v24, v13, v23
	v_lshl_or_b32 v8, v8, 9, 0x7c00
	v_cndmask_b32_e64 v0, 0x7c00, v0, s0
	v_cmp_eq_u32_e64 s0, 0x40f, v21
	v_lshrrev_b32_e32 v21, 8, v16
	v_cndmask_b32_e64 v0, v0, v8, s0
	v_lshlrev_b32_e32 v8, v13, v24
	v_cmp_ne_u32_e64 s0, 0, v15
	v_cvt_f32_f16_e32 v13, v17
	v_and_or_b32 v0, 0x8000, v9, v0
	v_and_b32_e32 v9, 0xffff, v19
	v_cndmask_b32_e64 v15, 0, 1, s0
	v_cmp_ne_u32_e64 s0, v8, v23
	v_cvt_f64_f32_e32 v[17:18], v13
	v_add_nc_u32_e32 v13, 0xfffffc10, v20
	v_sub_nc_u32_e32 v20, 0x3f1, v25
	v_and_or_b32 v15, 0xffe, v21, v15
	v_cndmask_b32_e64 v8, 0, 1, s0
	v_lshl_or_b32 v21, v13, 12, v5
	v_med3_i32 v20, v20, 0, 13
	v_or_b32_e32 v23, 0x1000, v15
	v_or_b32_e32 v8, v24, v8
	v_cmp_gt_i32_e64 s0, 1, v13
	v_lshl_or_b32 v24, v0, 16, v9
	v_cndmask_b32_e64 v19, v21, v8, s0
	v_lshrrev_b32_e32 v21, v20, v23
	v_add_co_u32 v2, s0, v2, s6
	v_add_co_ci_u32_e64 v3, s0, s7, v3, s0
	v_lshlrev_b32_e32 v20, v20, v21
	v_and_b32_e32 v26, 7, v19
	v_mul_f64 v[8:9], v[17:18], s[4:5]
	v_mul_f16_sdwa v17, v124, v1 dst_sel:DWORD dst_unused:UNUSED_PAD src0_sel:WORD_1 src1_sel:DWORD
	v_add_co_u32 v0, s0, v2, s6
	v_cmp_ne_u32_e64 s1, v20, v23
	v_add_co_ci_u32_e64 v1, s0, s7, v3, s0
	v_cmp_lt_i32_e64 s0, 5, v26
	v_fma_f16 v17, v124, v22, -v17
	v_cndmask_b32_e64 v18, 0, 1, s1
	v_cmp_eq_u32_e64 s1, 3, v26
	v_lshrrev_b32_e32 v19, 2, v19
	v_add_nc_u32_e32 v20, 0xfffffc10, v25
	v_cvt_f32_f16_e32 v17, v17
	v_or_b32_e32 v21, v21, v18
	s_or_b32 s0, s1, s0
	global_store_dword v[2:3], v11, off
	global_store_dword v[0:1], v24, off
	v_add_co_ci_u32_e64 v19, s0, 0, v19, s0
	v_cmp_ne_u32_e64 s0, 0, v5
	v_cvt_f64_f32_e32 v[17:18], v17
	v_lshl_or_b32 v22, v20, 12, v15
	v_and_or_b32 v8, 0x1ff, v9, v8
	v_lshrrev_b32_e32 v23, 8, v9
	v_cndmask_b32_e64 v5, 0, 1, s0
	v_cmp_gt_i32_e64 s0, 1, v20
	v_bfe_u32 v25, v9, 20, 11
	v_lshl_or_b32 v5, v5, 9, 0x7c00
	v_cndmask_b32_e64 v21, v22, v21, s0
	v_cmp_gt_i32_e64 s0, 31, v13
	v_and_b32_e32 v22, 7, v21
	v_cndmask_b32_e64 v19, 0x7c00, v19, s0
	v_cmp_ne_u32_e64 s0, 0, v8
	v_cmp_eq_u32_e64 s1, 3, v22
	v_cndmask_b32_e64 v8, 0, 1, s0
	v_cmp_eq_u32_e64 s0, 0x40f, v13
	v_and_or_b32 v8, 0xffe, v23, v8
	v_cndmask_b32_e64 v13, v19, v5, s0
	v_cmp_lt_i32_e64 s0, 5, v22
	v_lshrrev_b32_e32 v19, 16, v6
	v_mul_f64 v[5:6], v[17:18], s[4:5]
	v_lshrrev_b32_e32 v18, 2, v21
	v_sub_nc_u32_e32 v23, 0x3f1, v25
	s_or_b32 s0, s1, s0
	v_or_b32_e32 v21, 0x1000, v8
	v_lshrrev_b32_e32 v17, 16, v4
	v_add_co_ci_u32_e64 v18, s0, 0, v18, s0
	v_med3_i32 v22, v23, 0, 13
	v_cmp_ne_u32_e64 s0, 0, v15
	v_mul_f16_sdwa v23, v123, v17 dst_sel:DWORD dst_unused:UNUSED_PAD src0_sel:WORD_1 src1_sel:DWORD
	v_and_or_b32 v13, 0x8000, v19, v13
	v_lshrrev_b32_e32 v26, v22, v21
	v_cndmask_b32_e64 v15, 0, 1, s0
	v_cmp_gt_i32_e64 s0, 31, v20
	v_fmac_f16_e32 v23, v123, v4
	v_and_b32_e32 v13, 0xffff, v13
	v_lshlrev_b32_e32 v19, v22, v26
	v_lshl_or_b32 v15, v15, 9, 0x7c00
	v_cndmask_b32_e64 v18, 0x7c00, v18, s0
	v_cmp_eq_u32_e64 s0, 0x40f, v20
	v_and_or_b32 v5, 0x1ff, v6, v5
	v_cvt_f32_f16_e32 v22, v23
	v_lshrrev_b32_e32 v20, 16, v16
	v_bfe_u32 v23, v6, 20, 11
	v_cndmask_b32_e64 v18, v18, v15, s0
	v_cmp_ne_u32_e64 s0, v19, v21
	v_cvt_f64_f32_e32 v[15:16], v22
	v_add_nc_u32_e32 v21, 0xfffffc10, v25
	v_lshrrev_b32_e32 v22, 8, v6
	v_and_or_b32 v18, 0x8000, v20, v18
	v_cndmask_b32_e64 v19, 0, 1, s0
	v_cmp_ne_u32_e64 s0, 0, v5
	v_lshl_or_b32 v20, v21, 12, v8
	v_mul_f16_sdwa v4, v123, v4 dst_sel:DWORD dst_unused:UNUSED_PAD src0_sel:WORD_1 src1_sel:DWORD
	v_lshl_or_b32 v11, v18, 16, v13
	v_or_b32_e32 v19, v26, v19
	v_cndmask_b32_e64 v5, 0, 1, s0
	v_cmp_gt_i32_e64 s0, 1, v21
	v_fma_f16 v4, v123, v17, -v4
	v_lshrrev_b32_e32 v6, 16, v6
	v_and_or_b32 v22, 0xffe, v22, v5
	v_sub_nc_u32_e32 v5, 0x3f1, v23
	v_cndmask_b32_e64 v19, v20, v19, s0
	v_add_co_u32 v0, s0, v0, s6
	v_or_b32_e32 v20, 0x1000, v22
	v_med3_i32 v5, v5, 0, 13
	v_and_b32_e32 v13, 7, v19
	v_mul_f64 v[2:3], v[15:16], s[4:5]
	v_add_co_ci_u32_e64 v1, s0, s7, v1, s0
	v_lshrrev_b32_e32 v18, v5, v20
	v_cmp_lt_i32_e64 s0, 5, v13
	v_cmp_eq_u32_e64 s1, 3, v13
	v_lshrrev_b32_e32 v13, 2, v19
	v_cvt_f32_f16_e32 v4, v4
	v_lshlrev_b32_e32 v5, v5, v18
	v_add_nc_u32_e32 v15, 0xfffffc10, v23
	s_or_b32 s0, s1, s0
	v_lshrrev_b32_e32 v23, 16, v9
	v_add_co_ci_u32_e64 v13, s0, 0, v13, s0
	v_cmp_ne_u32_e64 s2, v5, v20
	v_cmp_ne_u32_e64 s0, 0, v8
	v_lshl_or_b32 v17, v15, 12, v22
	global_store_dword v[0:1], v11, off
	v_cndmask_b32_e64 v5, 0, 1, s2
	v_cndmask_b32_e64 v8, 0, 1, s0
	v_cmp_gt_i32_e64 s0, 1, v15
	v_and_or_b32 v2, 0x1ff, v3, v2
	v_bfe_u32 v19, v3, 20, 11
	v_or_b32_e32 v16, v18, v5
	v_cvt_f64_f32_e32 v[4:5], v4
	v_lshl_or_b32 v8, v8, 9, 0x7c00
	v_lshrrev_b32_e32 v18, 8, v3
	v_cndmask_b32_e64 v16, v17, v16, s0
	v_cmp_gt_i32_e64 s0, 31, v21
	v_and_b32_e32 v17, 7, v16
	v_cndmask_b32_e64 v13, 0x7c00, v13, s0
	v_cmp_ne_u32_e64 s0, 0, v2
	v_lshrrev_b32_e32 v16, 2, v16
	v_cmp_eq_u32_e64 s1, 3, v17
	v_cndmask_b32_e64 v2, 0, 1, s0
	v_cmp_eq_u32_e64 s0, 0x40f, v21
	v_and_or_b32 v2, 0xffe, v18, v2
	v_cndmask_b32_e64 v13, v13, v8, s0
	v_cmp_lt_i32_e64 s0, 5, v17
	v_mul_f64 v[4:5], v[4:5], s[4:5]
	v_sub_nc_u32_e32 v8, 0x3f1, v19
	v_lshrrev_b32_e32 v17, 16, v10
	v_or_b32_e32 v18, 0x1000, v2
	s_or_b32 s0, s1, s0
	v_and_or_b32 v13, 0x8000, v23, v13
	v_add_co_ci_u32_e64 v16, s0, 0, v16, s0
	v_med3_i32 v8, v8, 0, 13
	v_mul_f16_sdwa v20, v122, v17 dst_sel:DWORD dst_unused:UNUSED_PAD src0_sel:WORD_1 src1_sel:DWORD
	v_cmp_ne_u32_e64 s0, 0, v22
	v_and_b32_e32 v13, 0xffff, v13
	v_lshrrev_b32_e32 v22, v8, v18
	v_fmac_f16_e32 v20, v122, v10
	v_cndmask_b32_e64 v21, 0, 1, s0
	v_cmp_gt_i32_e64 s0, 31, v15
	v_mul_f16_sdwa v10, v122, v10 dst_sel:DWORD dst_unused:UNUSED_PAD src0_sel:WORD_1 src1_sel:DWORD
	v_cvt_f32_f16_e32 v9, v20
	v_lshl_or_b32 v21, v21, 9, 0x7c00
	v_cndmask_b32_e64 v16, 0x7c00, v16, s0
	v_lshlrev_b32_e32 v20, v8, v22
	v_cmp_eq_u32_e64 s0, 0x40f, v15
	v_and_or_b32 v4, 0x1ff, v5, v4
	v_cvt_f64_f32_e32 v[8:9], v9
	v_fma_f16 v10, v122, v17, -v10
	v_cndmask_b32_e64 v15, v16, v21, s0
	v_cmp_ne_u32_e64 s0, v20, v18
	v_add_nc_u32_e32 v18, 0xfffffc10, v19
	v_lshrrev_b32_e32 v19, 8, v5
	v_bfe_u32 v20, v5, 20, 11
	v_and_or_b32 v6, 0x8000, v6, v15
	v_cndmask_b32_e64 v16, 0, 1, s0
	v_cmp_ne_u32_e64 s0, 0, v4
	v_cvt_f32_f16_e32 v10, v10
	v_lshrrev_b32_e32 v5, 16, v5
	v_lshl_or_b32 v6, v6, 16, v13
	v_or_b32_e32 v15, v22, v16
	v_lshl_or_b32 v16, v18, 12, v2
	v_cndmask_b32_e64 v4, 0, 1, s0
	v_cmp_gt_i32_e64 s0, 1, v18
	v_and_or_b32 v4, 0xffe, v19, v4
	v_cndmask_b32_e64 v15, v16, v15, s0
	v_sub_nc_u32_e32 v16, 0x3f1, v20
	v_add_co_u32 v0, s0, v0, s6
	v_or_b32_e32 v13, 0x1000, v4
	v_and_b32_e32 v11, 7, v15
	v_med3_i32 v16, v16, 0, 13
	v_add_co_ci_u32_e64 v1, s0, s7, v1, s0
	v_mul_f64 v[8:9], v[8:9], s[4:5]
	v_cmp_lt_i32_e64 s0, 5, v11
	v_lshrrev_b32_e32 v19, v16, v13
	v_cmp_eq_u32_e64 s1, 3, v11
	global_store_dword v[0:1], v6, off
	v_lshrrev_b32_e32 v6, 2, v15
	v_add_nc_u32_e32 v15, 0xfffffc10, v20
	v_lshlrev_b32_e32 v11, v16, v19
	s_or_b32 s0, s1, s0
	v_lshrrev_b32_e32 v20, 16, v12
	v_add_co_ci_u32_e64 v6, s0, 0, v6, s0
	v_cmp_ne_u32_e64 s0, v11, v13
	v_cvt_f64_f32_e32 v[10:11], v10
	v_lshl_or_b32 v16, v15, 12, v4
	v_cndmask_b32_e64 v13, 0, 1, s0
	v_cmp_ne_u32_e64 s0, 0, v2
	v_or_b32_e32 v13, v19, v13
	v_cndmask_b32_e64 v2, 0, 1, s0
	v_cmp_gt_i32_e64 s0, 31, v18
	v_and_or_b32 v8, 0x1ff, v9, v8
	v_bfe_u32 v17, v9, 20, 11
	v_lshl_or_b32 v2, v2, 9, 0x7c00
	v_cndmask_b32_e64 v6, 0x7c00, v6, s0
	v_cmp_gt_i32_e64 s0, 1, v15
	v_sub_nc_u32_e32 v19, 0x3f1, v17
	v_add_nc_u32_e32 v17, 0xfffffc10, v17
	v_cndmask_b32_e64 v13, v16, v13, s0
	v_cmp_ne_u32_e64 s0, 0, v8
	v_lshrrev_b32_e32 v16, 8, v9
	v_lshrrev_b32_e32 v9, 16, v9
	v_cndmask_b32_e64 v8, 0, 1, s0
	v_cmp_eq_u32_e64 s0, 0x40f, v18
	v_and_b32_e32 v18, 7, v13
	v_lshrrev_b32_e32 v13, 2, v13
	v_and_or_b32 v8, 0xffe, v16, v8
	v_cndmask_b32_e64 v6, v6, v2, s0
	v_cmp_lt_i32_e64 s0, 5, v18
	v_cmp_eq_u32_e64 s1, 3, v18
	v_lshrrev_b32_e32 v16, 16, v3
	v_mul_f64 v[2:3], v[10:11], s[4:5]
	v_or_b32_e32 v21, 0x1000, v8
	v_med3_i32 v10, v19, 0, 13
	v_mul_f16_sdwa v11, v121, v20 dst_sel:DWORD dst_unused:UNUSED_PAD src0_sel:WORD_1 src1_sel:DWORD
	s_or_b32 s0, s1, s0
	v_and_or_b32 v6, 0x8000, v16, v6
	v_add_co_ci_u32_e64 v13, s0, 0, v13, s0
	v_lshrrev_b32_e32 v16, v10, v21
	v_cmp_ne_u32_e64 s0, 0, v4
	v_fmac_f16_e32 v11, v121, v12
	v_and_b32_e32 v6, 0xffff, v6
	v_lshlrev_b32_e32 v18, v10, v16
	v_cndmask_b32_e64 v4, 0, 1, s0
	v_cmp_gt_i32_e64 s0, 31, v15
	v_cvt_f32_f16_e32 v11, v11
	v_lshl_or_b32 v4, v4, 9, 0x7c00
	v_cndmask_b32_e64 v13, 0x7c00, v13, s0
	v_cmp_ne_u32_e64 s0, v18, v21
	v_cvt_f64_f32_e32 v[10:11], v11
	v_and_or_b32 v2, 0x1ff, v3, v2
	v_cndmask_b32_e64 v18, 0, 1, s0
	v_cmp_eq_u32_e64 s0, 0x40f, v15
	v_lshl_or_b32 v15, v17, 12, v8
	v_cndmask_b32_e64 v4, v13, v4, s0
	v_cmp_ne_u32_e64 s0, 0, v2
	v_or_b32_e32 v13, v16, v18
	v_lshrrev_b32_e32 v16, 8, v3
	v_bfe_u32 v18, v3, 20, 11
	v_cndmask_b32_e64 v2, 0, 1, s0
	v_cmp_gt_i32_e64 s0, 1, v17
	v_and_or_b32 v2, 0xffe, v16, v2
	v_sub_nc_u32_e32 v16, 0x3f1, v18
	v_cndmask_b32_e64 v13, v15, v13, s0
	v_and_or_b32 v15, 0x8000, v5, v4
	v_mul_f64 v[4:5], v[10:11], s[4:5]
	v_or_b32_e32 v21, 0x1000, v2
	v_med3_i32 v16, v16, 0, 13
	v_and_b32_e32 v19, 7, v13
	v_mul_f16_sdwa v10, v121, v12 dst_sel:DWORD dst_unused:UNUSED_PAD src0_sel:WORD_1 src1_sel:DWORD
	v_lshl_or_b32 v12, v15, 16, v6
	v_lshrrev_b32_e32 v6, v16, v21
	v_cmp_lt_i32_e64 s0, 5, v19
	v_cmp_eq_u32_e64 s1, 3, v19
	v_fma_f16 v15, v121, v20, -v10
	v_add_co_u32 v10, s2, v0, s6
	v_lshrrev_b32_e32 v0, 2, v13
	v_add_co_ci_u32_e64 v11, s2, s7, v1, s2
	v_lshlrev_b32_e32 v1, v16, v6
	s_or_b32 s0, s1, s0
	v_cvt_f32_f16_e32 v13, v15
	v_add_co_ci_u32_e64 v15, s0, 0, v0, s0
	v_cmp_ne_u32_e64 s0, v1, v21
	v_and_or_b32 v4, 0x1ff, v5, v4
	v_cvt_f64_f32_e32 v[0:1], v13
	v_add_nc_u32_e32 v13, 0xfffffc10, v18
	v_lshrrev_b32_e32 v18, 8, v5
	v_cndmask_b32_e64 v16, 0, 1, s0
	v_cmp_gt_i32_e64 s0, 31, v17
	v_bfe_u32 v19, v5, 20, 11
	v_or_b32_e32 v6, v6, v16
	v_cndmask_b32_e64 v15, 0x7c00, v15, s0
	v_cmp_ne_u32_e64 s0, 0, v4
	v_lshl_or_b32 v16, v13, 12, v2
	v_cndmask_b32_e64 v4, 0, 1, s0
	v_cmp_ne_u32_e64 s0, 0, v8
	v_and_or_b32 v4, 0xffe, v18, v4
	v_cndmask_b32_e64 v8, 0, 1, s0
	v_cmp_gt_i32_e64 s0, 1, v13
	v_lshrrev_b32_e32 v18, 16, v7
	v_mul_f64 v[0:1], v[0:1], s[4:5]
	v_or_b32_e32 v21, 0x1000, v4
	v_lshl_or_b32 v8, v8, 9, 0x7c00
	v_cndmask_b32_e64 v6, v16, v6, s0
	v_sub_nc_u32_e32 v16, 0x3f1, v19
	v_cmp_eq_u32_e64 s0, 0x40f, v17
	v_mul_f16_sdwa v22, v120, v18 dst_sel:DWORD dst_unused:UNUSED_PAD src0_sel:WORD_1 src1_sel:DWORD
	v_add_nc_u32_e32 v19, 0xfffffc10, v19
	v_and_b32_e32 v20, 7, v6
	v_med3_i32 v16, v16, 0, 13
	v_cndmask_b32_e64 v8, v15, v8, s0
	v_lshrrev_b32_e32 v6, 2, v6
	v_fmac_f16_e32 v22, v120, v7
	v_cmp_lt_i32_e64 s0, 5, v20
	v_lshrrev_b32_e32 v15, v16, v21
	v_cmp_eq_u32_e64 s1, 3, v20
	v_and_or_b32 v17, 0x8000, v9, v8
	v_cvt_f32_f16_e32 v9, v22
	v_mul_f16_sdwa v7, v120, v7 dst_sel:DWORD dst_unused:UNUSED_PAD src0_sel:WORD_1 src1_sel:DWORD
	v_lshlrev_b32_e32 v8, v16, v15
	s_or_b32 s0, s1, s0
	v_add_co_ci_u32_e64 v6, s0, 0, v6, s0
	v_cmp_ne_u32_e64 s0, v8, v21
	v_cvt_f64_f32_e32 v[8:9], v9
	v_and_or_b32 v0, 0x1ff, v1, v0
	v_bfe_u32 v20, v1, 20, 11
	v_fma_f16 v7, v120, v18, -v7
	v_cndmask_b32_e64 v16, 0, 1, s0
	v_cmp_ne_u32_e64 s0, 0, v2
	v_lshrrev_b32_e32 v18, 16, v5
	v_or_b32_e32 v15, v15, v16
	v_cndmask_b32_e64 v2, 0, 1, s0
	v_cmp_gt_i32_e64 s0, 31, v13
	v_lshl_or_b32 v16, v19, 12, v4
	v_lshl_or_b32 v2, v2, 9, 0x7c00
	v_cndmask_b32_e64 v6, 0x7c00, v6, s0
	v_cmp_gt_i32_e64 s0, 1, v19
	v_cndmask_b32_e64 v15, v16, v15, s0
	v_cmp_ne_u32_e64 s0, 0, v0
	v_lshrrev_b32_e32 v16, 8, v1
	v_and_b32_e32 v21, 7, v15
	v_cndmask_b32_e64 v0, 0, 1, s0
	v_cmp_eq_u32_e64 s0, 0x40f, v13
	v_sub_nc_u32_e32 v13, 0x3f1, v20
	v_cmp_eq_u32_e64 s1, 3, v21
	v_and_or_b32 v0, 0xffe, v16, v0
	v_cndmask_b32_e64 v6, v6, v2, s0
	v_cmp_lt_i32_e64 s0, 5, v21
	v_lshrrev_b32_e32 v16, 16, v3
	v_mul_f64 v[2:3], v[8:9], s[4:5]
	v_med3_i32 v9, v13, 0, 13
	v_lshrrev_b32_e32 v13, 2, v15
	v_or_b32_e32 v8, 0x1000, v0
	s_or_b32 s0, s1, s0
	v_and_or_b32 v6, 0x8000, v16, v6
	v_and_b32_e32 v15, 0xffff, v17
	v_add_co_ci_u32_e64 v13, s0, 0, v13, s0
	v_lshrrev_b32_e32 v16, v9, v8
	v_cmp_ne_u32_e64 s0, 0, v4
	v_lshl_or_b32 v15, v6, 16, v15
	v_lshlrev_b32_e32 v6, v9, v16
	v_cndmask_b32_e64 v4, 0, 1, s0
	v_cmp_gt_i32_e64 s0, 31, v19
	v_lshl_or_b32 v4, v4, 9, 0x7c00
	v_cndmask_b32_e64 v9, 0x7c00, v13, s0
	v_cmp_ne_u32_e64 s0, v6, v8
	v_and_or_b32 v2, 0x1ff, v3, v2
	v_add_nc_u32_e32 v13, 0xfffffc10, v20
	v_bfe_u32 v17, v3, 20, 11
	v_cndmask_b32_e64 v6, 0, 1, s0
	v_cmp_eq_u32_e64 s0, 0x40f, v19
	v_cndmask_b32_e64 v8, v9, v4, s0
	v_cmp_ne_u32_e64 s0, 0, v2
	v_or_b32_e32 v4, v16, v6
	v_cvt_f32_f16_e32 v6, v7
	v_lshl_or_b32 v9, v13, 12, v0
	v_lshrrev_b32_e32 v16, 8, v3
	v_cndmask_b32_e64 v2, 0, 1, s0
	v_cmp_gt_i32_e64 s0, 1, v13
	v_cvt_f64_f32_e32 v[6:7], v6
	v_and_or_b32 v18, 0x8000, v18, v8
	v_lshrrev_b32_e32 v3, 16, v3
	v_and_or_b32 v2, 0xffe, v16, v2
	v_cndmask_b32_e64 v9, v9, v4, s0
	v_sub_nc_u32_e32 v4, 0x3f1, v17
	v_lshrrev_b32_e32 v16, 16, v14
	v_add_nc_u32_e32 v17, 0xfffffc10, v17
	v_or_b32_e32 v20, 0x1000, v2
	v_and_b32_e32 v19, 7, v9
	v_med3_i32 v21, v4, 0, 13
	v_mul_f16_sdwa v22, v119, v16 dst_sel:DWORD dst_unused:UNUSED_PAD src0_sel:WORD_1 src1_sel:DWORD
	v_add_co_u32 v4, s0, v10, s6
	v_add_co_ci_u32_e64 v5, s0, s7, v11, s0
	v_lshrrev_b32_e32 v23, v21, v20
	v_fmac_f16_e32 v22, v119, v14
	v_cmp_lt_i32_e64 s0, 5, v19
	v_cmp_eq_u32_e64 s1, 3, v19
	v_lshrrev_b32_e32 v8, 2, v9
	v_lshlrev_b32_e32 v19, v21, v23
	v_cvt_f32_f16_e32 v9, v22
	v_mul_f64 v[6:7], v[6:7], s[4:5]
	s_or_b32 s0, s1, s0
	v_mul_f16_sdwa v14, v119, v14 dst_sel:DWORD dst_unused:UNUSED_PAD src0_sel:WORD_1 src1_sel:DWORD
	v_add_co_ci_u32_e64 v21, s0, 0, v8, s0
	v_cmp_ne_u32_e64 s0, v19, v20
	v_cvt_f64_f32_e32 v[8:9], v9
	v_lshl_or_b32 v20, v17, 12, v2
	v_fma_f16 v14, v119, v16, -v14
	v_cndmask_b32_e64 v19, 0, 1, s0
	v_cmp_ne_u32_e64 s0, 0, v0
	v_cvt_f32_f16_e32 v14, v14
	v_or_b32_e32 v19, v23, v19
	v_cndmask_b32_e64 v0, 0, 1, s0
	v_cmp_gt_i32_e64 s0, 31, v13
	v_lshl_or_b32 v0, v0, 9, 0x7c00
	v_cndmask_b32_e64 v16, 0x7c00, v21, s0
	v_cmp_gt_i32_e64 s0, 1, v17
	v_and_or_b32 v6, 0x1ff, v7, v6
	v_bfe_u32 v21, v7, 20, 11
	v_cndmask_b32_e64 v19, v20, v19, s0
	v_cmp_eq_u32_e64 s0, 0x40f, v13
	v_mul_f64 v[8:9], v[8:9], s[4:5]
	v_lshrrev_b32_e32 v20, 8, v7
	v_lshrrev_b32_e32 v7, 16, v7
	v_cndmask_b32_e64 v13, v16, v0, s0
	v_lshrrev_b32_e32 v16, 16, v1
	v_cvt_f64_f32_e32 v[0:1], v14
	v_cmp_ne_u32_e64 s0, 0, v6
	v_and_b32_e32 v14, 7, v19
	v_and_or_b32 v13, 0x8000, v16, v13
	v_and_b32_e32 v16, 0xffff, v18
	v_cndmask_b32_e64 v6, 0, 1, s0
	v_cmp_lt_i32_e64 s0, 5, v14
	v_cmp_eq_u32_e64 s1, 3, v14
	v_lshrrev_b32_e32 v14, 2, v19
	v_sub_nc_u32_e32 v18, 0x3f1, v21
	v_and_or_b32 v6, 0xffe, v20, v6
	v_lshl_or_b32 v13, v13, 16, v16
	s_or_b32 s0, s1, s0
	v_add_co_ci_u32_e64 v14, s0, 0, v14, s0
	v_or_b32_e32 v16, 0x1000, v6
	v_med3_i32 v18, v18, 0, 13
	v_cmp_ne_u32_e64 s0, 0, v2
	v_and_or_b32 v8, 0x1ff, v9, v8
	v_lshrrev_b32_e32 v20, 8, v9
	v_mul_f64 v[0:1], v[0:1], s[4:5]
	v_lshrrev_b32_e32 v19, v18, v16
	v_cndmask_b32_e64 v2, 0, 1, s0
	v_cmp_gt_i32_e64 s0, 31, v17
	v_bfe_u32 v22, v9, 20, 11
	v_lshrrev_b32_e32 v9, 16, v9
	v_lshlrev_b32_e32 v18, v18, v19
	v_lshl_or_b32 v2, v2, 9, 0x7c00
	v_cndmask_b32_e64 v14, 0x7c00, v14, s0
	v_cmp_ne_u32_e64 s0, 0, v8
	v_cndmask_b32_e64 v8, 0, 1, s0
	v_cmp_ne_u32_e64 s0, v18, v16
	v_add_nc_u32_e32 v18, 0xfffffc10, v21
	v_and_or_b32 v8, 0xffe, v20, v8
	v_cndmask_b32_e64 v16, 0, 1, s0
	v_sub_nc_u32_e32 v20, 0x3f1, v22
	v_cmp_eq_u32_e64 s0, 0x40f, v17
	v_and_or_b32 v0, 0x1ff, v1, v0
	v_or_b32_e32 v17, 0x1000, v8
	v_bfe_u32 v21, v1, 20, 11
	v_cndmask_b32_e64 v2, v14, v2, s0
	v_or_b32_e32 v14, v19, v16
	v_lshl_or_b32 v16, v18, 12, v6
	v_med3_i32 v19, v20, 0, 13
	v_cmp_gt_i32_e64 s0, 1, v18
	v_lshrrev_b32_e32 v20, 8, v1
	v_and_or_b32 v2, 0x8000, v3, v2
	v_sub_nc_u32_e32 v3, 0x3f1, v21
	v_lshrrev_b32_e32 v1, 16, v1
	v_cndmask_b32_e64 v14, v16, v14, s0
	v_lshrrev_b32_e32 v16, v19, v17
	v_cmp_ne_u32_e64 s0, 0, v0
	v_med3_i32 v3, v3, 0, 13
	v_and_b32_e32 v23, 7, v14
	v_lshlrev_b32_e32 v19, v19, v16
	v_cndmask_b32_e64 v0, 0, 1, s0
	v_lshrrev_b32_e32 v14, 2, v14
	v_cmp_lt_i32_e64 s0, 5, v23
	v_cmp_ne_u32_e64 s1, v19, v17
	v_and_or_b32 v0, 0xffe, v20, v0
	v_add_nc_u32_e32 v20, 0xfffffc10, v22
	v_cndmask_b32_e64 v17, 0, 1, s1
	v_cmp_eq_u32_e64 s1, 3, v23
	v_or_b32_e32 v19, 0x1000, v0
	v_lshl_or_b32 v22, v20, 12, v8
	v_or_b32_e32 v16, v16, v17
	s_or_b32 s0, s1, s0
	v_lshrrev_b32_e32 v17, v3, v19
	v_add_co_ci_u32_e64 v14, s0, 0, v14, s0
	v_cmp_gt_i32_e64 s0, 1, v20
	v_lshlrev_b32_e32 v3, v3, v17
	v_cndmask_b32_e64 v16, v22, v16, s0
	v_cmp_ne_u32_e64 s0, 0, v6
	v_cndmask_b32_e64 v6, 0, 1, s0
	v_cmp_ne_u32_e64 s0, v3, v19
	v_add_nc_u32_e32 v19, 0xfffffc10, v21
	v_and_b32_e32 v21, 7, v16
	v_lshl_or_b32 v6, v6, 9, 0x7c00
	v_cndmask_b32_e64 v3, 0, 1, s0
	v_cmp_gt_i32_e64 s0, 31, v18
	v_cmp_gt_i32_e64 s2, 1, v19
	v_cmp_eq_u32_e64 s1, 3, v21
	v_or_b32_e32 v3, v17, v3
	v_lshl_or_b32 v17, v19, 12, v0
	v_cndmask_b32_e64 v14, 0x7c00, v14, s0
	v_cmp_lt_i32_e64 s0, 5, v21
	v_cndmask_b32_e64 v3, v17, v3, s2
	v_cmp_eq_u32_e64 s2, 0x40f, v18
	s_or_b32 s0, s1, s0
	v_cndmask_b32_e64 v6, v14, v6, s2
	v_lshrrev_b32_e32 v14, 2, v16
	v_and_b32_e32 v16, 7, v3
	v_lshrrev_b32_e32 v3, 2, v3
	v_cmp_gt_i32_e64 s2, 31, v20
	v_and_or_b32 v6, 0x8000, v7, v6
	v_add_co_ci_u32_e64 v14, s0, 0, v14, s0
	v_cmp_ne_u32_e64 s0, 0, v8
	v_cmp_eq_u32_e64 s1, 3, v16
	v_and_b32_e32 v7, 0xffff, v2
	v_cndmask_b32_e64 v14, 0x7c00, v14, s2
	v_cndmask_b32_e64 v8, 0, 1, s0
	v_cmp_lt_i32_e64 s0, 5, v16
	v_lshl_or_b32 v8, v8, 9, 0x7c00
	s_or_b32 s0, s1, s0
	v_add_co_ci_u32_e64 v3, s0, 0, v3, s0
	v_cmp_ne_u32_e64 s0, 0, v0
	v_cndmask_b32_e64 v0, 0, 1, s0
	v_cmp_eq_u32_e64 s0, 0x40f, v20
	v_lshl_or_b32 v0, v0, 9, 0x7c00
	v_cndmask_b32_e64 v8, v14, v8, s0
	v_cmp_gt_i32_e64 s0, 31, v19
	v_and_or_b32 v8, 0x8000, v9, v8
	v_cndmask_b32_e64 v3, 0x7c00, v3, s0
	v_cmp_eq_u32_e64 s0, 0x40f, v19
	v_lshl_or_b32 v9, v6, 16, v7
	v_cndmask_b32_e64 v0, v3, v0, s0
	v_add_co_u32 v2, s0, v4, s6
	v_add_co_ci_u32_e64 v3, s0, s7, v5, s0
	v_and_or_b32 v0, 0x8000, v1, v0
	v_and_b32_e32 v1, 0xffff, v8
	v_add_co_u32 v6, s0, v2, s6
	v_add_co_ci_u32_e64 v7, s0, s7, v3, s0
	v_lshl_or_b32 v8, v0, 16, v1
	v_add_co_u32 v0, s0, v6, s6
	v_add_co_ci_u32_e64 v1, s0, s7, v7, s0
	global_store_dword v[10:11], v12, off
	global_store_dword v[4:5], v15, off
	;; [unrolled: 1-line block ×5, first 2 shown]
	s_and_b32 exec_lo, exec_lo, vcc_lo
	s_cbranch_execz .LBB0_31
; %bb.30:
	global_load_dword v4, v[48:49], off offset:720
	v_add_nc_u32_e32 v2, 0x280, v118
	ds_read2_b32 v[2:3], v2 offset0:20 offset1:245
	s_waitcnt lgkmcnt(0)
	v_lshrrev_b32_e32 v5, 16, v2
	s_waitcnt vmcnt(0)
	v_mul_f16_sdwa v6, v5, v4 dst_sel:DWORD dst_unused:UNUSED_PAD src0_sel:DWORD src1_sel:WORD_1
	v_mul_f16_sdwa v7, v2, v4 dst_sel:DWORD dst_unused:UNUSED_PAD src0_sel:DWORD src1_sel:WORD_1
	v_fmac_f16_e32 v6, v2, v4
	v_fma_f16 v2, v4, v5, -v7
	v_cvt_f32_f16_e32 v4, v6
	v_cvt_f32_f16_e32 v2, v2
	v_cvt_f64_f32_e32 v[4:5], v4
	v_cvt_f64_f32_e32 v[6:7], v2
	v_mul_f64 v[4:5], v[4:5], s[4:5]
	v_mul_f64 v[6:7], v[6:7], s[4:5]
	v_and_or_b32 v2, 0x1ff, v5, v4
	v_and_or_b32 v6, 0x1ff, v7, v6
	v_lshrrev_b32_e32 v4, 8, v5
	v_bfe_u32 v8, v5, 20, 11
	v_lshrrev_b32_e32 v9, 8, v7
	v_cmp_ne_u32_e32 vcc_lo, 0, v2
	v_bfe_u32 v10, v7, 20, 11
	v_lshrrev_b32_e32 v5, 16, v5
	v_sub_nc_u32_e32 v11, 0x3f1, v8
	v_add_nc_u32_e32 v8, 0xfffffc10, v8
	v_cndmask_b32_e64 v2, 0, 1, vcc_lo
	v_cmp_ne_u32_e32 vcc_lo, 0, v6
	v_lshrrev_b32_e32 v7, 16, v7
	v_and_or_b32 v2, 0xffe, v4, v2
	v_cndmask_b32_e64 v6, 0, 1, vcc_lo
	v_sub_nc_u32_e32 v4, 0x3f1, v10
	v_add_nc_u32_e32 v10, 0xfffffc10, v10
	v_and_or_b32 v6, 0xffe, v9, v6
	v_med3_i32 v9, v11, 0, 13
	v_or_b32_e32 v11, 0x1000, v2
	v_med3_i32 v4, v4, 0, 13
	v_or_b32_e32 v12, 0x1000, v6
	v_lshrrev_b32_e32 v13, v9, v11
	v_lshrrev_b32_e32 v14, v4, v12
	v_lshlrev_b32_e32 v9, v9, v13
	v_lshlrev_b32_e32 v4, v4, v14
	v_cmp_ne_u32_e32 vcc_lo, v9, v11
	v_lshl_or_b32 v11, v8, 12, v2
	v_cndmask_b32_e64 v9, 0, 1, vcc_lo
	v_cmp_ne_u32_e32 vcc_lo, v4, v12
	v_lshl_or_b32 v12, v10, 12, v6
	v_or_b32_e32 v9, v13, v9
	v_cndmask_b32_e64 v4, 0, 1, vcc_lo
	v_cmp_gt_i32_e32 vcc_lo, 1, v8
	v_or_b32_e32 v4, v14, v4
	v_cndmask_b32_e32 v9, v11, v9, vcc_lo
	v_cmp_gt_i32_e32 vcc_lo, 1, v10
	v_and_b32_e32 v11, 7, v9
	v_cndmask_b32_e32 v4, v12, v4, vcc_lo
	v_cmp_ne_u32_e32 vcc_lo, 0, v2
	v_lshrrev_b32_e32 v9, 2, v9
	v_cmp_eq_u32_e64 s0, 3, v11
	v_and_b32_e32 v12, 7, v4
	v_cndmask_b32_e64 v2, 0, 1, vcc_lo
	v_cmp_ne_u32_e32 vcc_lo, 0, v6
	v_lshrrev_b32_e32 v4, 2, v4
	v_cmp_lt_i32_e64 s1, 5, v12
	v_cmp_eq_u32_e64 s2, 3, v12
	v_cndmask_b32_e64 v6, 0, 1, vcc_lo
	v_cmp_lt_i32_e32 vcc_lo, 5, v11
	v_lshl_or_b32 v2, v2, 9, 0x7c00
	v_lshl_or_b32 v6, v6, 9, 0x7c00
	s_or_b32 vcc_lo, s0, vcc_lo
	v_add_co_ci_u32_e32 v9, vcc_lo, 0, v9, vcc_lo
	s_or_b32 vcc_lo, s2, s1
	v_add_co_ci_u32_e32 v4, vcc_lo, 0, v4, vcc_lo
	v_cmp_gt_i32_e32 vcc_lo, 31, v8
	v_cndmask_b32_e32 v9, 0x7c00, v9, vcc_lo
	v_cmp_gt_i32_e32 vcc_lo, 31, v10
	v_cndmask_b32_e32 v4, 0x7c00, v4, vcc_lo
	v_cmp_eq_u32_e32 vcc_lo, 0x40f, v8
	v_cndmask_b32_e32 v2, v9, v2, vcc_lo
	v_cmp_eq_u32_e32 vcc_lo, 0x40f, v10
	v_and_or_b32 v2, 0x8000, v5, v2
	v_cndmask_b32_e32 v4, v4, v6, vcc_lo
	v_add_co_u32 v0, vcc_lo, v0, s8
	v_add_co_ci_u32_e32 v1, vcc_lo, s9, v1, vcc_lo
	v_and_or_b32 v4, 0x8000, v7, v4
	v_and_b32_e32 v2, 0xffff, v2
	v_lshl_or_b32 v2, v4, 16, v2
	v_lshrrev_b32_e32 v4, 16, v3
	global_store_dword v[0:1], v2, off
	global_load_dword v2, v[48:49], off offset:1620
	s_waitcnt vmcnt(0)
	v_mul_f16_sdwa v5, v4, v2 dst_sel:DWORD dst_unused:UNUSED_PAD src0_sel:DWORD src1_sel:WORD_1
	v_mul_f16_sdwa v6, v3, v2 dst_sel:DWORD dst_unused:UNUSED_PAD src0_sel:DWORD src1_sel:WORD_1
	v_fmac_f16_e32 v5, v3, v2
	v_fma_f16 v2, v2, v4, -v6
	v_cvt_f32_f16_e32 v3, v5
	v_cvt_f32_f16_e32 v4, v2
	v_cvt_f64_f32_e32 v[2:3], v3
	v_cvt_f64_f32_e32 v[4:5], v4
	v_mul_f64 v[2:3], v[2:3], s[4:5]
	v_mul_f64 v[4:5], v[4:5], s[4:5]
	v_and_or_b32 v2, 0x1ff, v3, v2
	v_and_or_b32 v4, 0x1ff, v5, v4
	v_lshrrev_b32_e32 v6, 8, v3
	v_bfe_u32 v7, v3, 20, 11
	v_lshrrev_b32_e32 v8, 8, v5
	v_cmp_ne_u32_e32 vcc_lo, 0, v2
	v_bfe_u32 v9, v5, 20, 11
	v_lshrrev_b32_e32 v3, 16, v3
	v_sub_nc_u32_e32 v10, 0x3f1, v7
	v_add_nc_u32_e32 v7, 0xfffffc10, v7
	v_cndmask_b32_e64 v2, 0, 1, vcc_lo
	v_cmp_ne_u32_e32 vcc_lo, 0, v4
	v_lshrrev_b32_e32 v5, 16, v5
	v_and_or_b32 v2, 0xffe, v6, v2
	v_cndmask_b32_e64 v4, 0, 1, vcc_lo
	v_sub_nc_u32_e32 v6, 0x3f1, v9
	v_add_nc_u32_e32 v9, 0xfffffc10, v9
	v_and_or_b32 v4, 0xffe, v8, v4
	v_med3_i32 v8, v10, 0, 13
	v_or_b32_e32 v10, 0x1000, v2
	v_med3_i32 v6, v6, 0, 13
	v_or_b32_e32 v11, 0x1000, v4
	v_lshrrev_b32_e32 v12, v8, v10
	v_lshrrev_b32_e32 v13, v6, v11
	v_lshlrev_b32_e32 v8, v8, v12
	v_lshlrev_b32_e32 v6, v6, v13
	v_cmp_ne_u32_e32 vcc_lo, v8, v10
	v_lshl_or_b32 v10, v7, 12, v2
	v_cndmask_b32_e64 v8, 0, 1, vcc_lo
	v_cmp_ne_u32_e32 vcc_lo, v6, v11
	v_lshl_or_b32 v11, v9, 12, v4
	v_or_b32_e32 v8, v12, v8
	v_cndmask_b32_e64 v6, 0, 1, vcc_lo
	v_cmp_gt_i32_e32 vcc_lo, 1, v7
	v_or_b32_e32 v6, v13, v6
	v_cndmask_b32_e32 v8, v10, v8, vcc_lo
	v_cmp_gt_i32_e32 vcc_lo, 1, v9
	v_and_b32_e32 v10, 7, v8
	v_cndmask_b32_e32 v6, v11, v6, vcc_lo
	v_cmp_ne_u32_e32 vcc_lo, 0, v2
	v_lshrrev_b32_e32 v8, 2, v8
	v_cmp_eq_u32_e64 s0, 3, v10
	v_and_b32_e32 v11, 7, v6
	v_cndmask_b32_e64 v2, 0, 1, vcc_lo
	v_cmp_ne_u32_e32 vcc_lo, 0, v4
	v_lshrrev_b32_e32 v6, 2, v6
	v_cmp_lt_i32_e64 s1, 5, v11
	v_cmp_eq_u32_e64 s2, 3, v11
	v_cndmask_b32_e64 v4, 0, 1, vcc_lo
	v_cmp_lt_i32_e32 vcc_lo, 5, v10
	v_lshl_or_b32 v2, v2, 9, 0x7c00
	v_lshl_or_b32 v4, v4, 9, 0x7c00
	s_or_b32 vcc_lo, s0, vcc_lo
	v_add_co_ci_u32_e32 v8, vcc_lo, 0, v8, vcc_lo
	s_or_b32 vcc_lo, s2, s1
	v_add_co_ci_u32_e32 v6, vcc_lo, 0, v6, vcc_lo
	v_cmp_gt_i32_e32 vcc_lo, 31, v7
	v_cndmask_b32_e32 v8, 0x7c00, v8, vcc_lo
	v_cmp_gt_i32_e32 vcc_lo, 31, v9
	v_cndmask_b32_e32 v6, 0x7c00, v6, vcc_lo
	v_cmp_eq_u32_e32 vcc_lo, 0x40f, v7
	v_cndmask_b32_e32 v2, v8, v2, vcc_lo
	v_cmp_eq_u32_e32 vcc_lo, 0x40f, v9
	v_and_or_b32 v2, 0x8000, v3, v2
	v_cndmask_b32_e32 v4, v6, v4, vcc_lo
	v_add_co_u32 v0, vcc_lo, v0, s6
	v_add_co_ci_u32_e32 v1, vcc_lo, s7, v1, vcc_lo
	v_and_or_b32 v3, 0x8000, v5, v4
	v_and_b32_e32 v2, 0xffff, v2
	v_lshl_or_b32 v2, v3, 16, v2
	global_store_dword v[0:1], v2, off
	global_load_dword v4, v[46:47], off offset:472
	v_add_nc_u32_e32 v2, 0x980, v118
	ds_read2_b32 v[2:3], v2 offset0:22 offset1:247
	s_waitcnt lgkmcnt(0)
	v_lshrrev_b32_e32 v5, 16, v2
	s_waitcnt vmcnt(0)
	v_mul_f16_sdwa v6, v5, v4 dst_sel:DWORD dst_unused:UNUSED_PAD src0_sel:DWORD src1_sel:WORD_1
	v_mul_f16_sdwa v7, v2, v4 dst_sel:DWORD dst_unused:UNUSED_PAD src0_sel:DWORD src1_sel:WORD_1
	v_fmac_f16_e32 v6, v2, v4
	v_fma_f16 v2, v4, v5, -v7
	v_cvt_f32_f16_e32 v4, v6
	v_cvt_f32_f16_e32 v2, v2
	v_cvt_f64_f32_e32 v[4:5], v4
	v_cvt_f64_f32_e32 v[6:7], v2
	v_mul_f64 v[4:5], v[4:5], s[4:5]
	v_mul_f64 v[6:7], v[6:7], s[4:5]
	v_and_or_b32 v2, 0x1ff, v5, v4
	v_and_or_b32 v6, 0x1ff, v7, v6
	v_lshrrev_b32_e32 v4, 8, v5
	v_bfe_u32 v8, v5, 20, 11
	v_lshrrev_b32_e32 v9, 8, v7
	v_cmp_ne_u32_e32 vcc_lo, 0, v2
	v_bfe_u32 v10, v7, 20, 11
	v_lshrrev_b32_e32 v5, 16, v5
	v_sub_nc_u32_e32 v11, 0x3f1, v8
	v_add_nc_u32_e32 v8, 0xfffffc10, v8
	v_cndmask_b32_e64 v2, 0, 1, vcc_lo
	v_cmp_ne_u32_e32 vcc_lo, 0, v6
	v_lshrrev_b32_e32 v7, 16, v7
	v_and_or_b32 v2, 0xffe, v4, v2
	v_cndmask_b32_e64 v6, 0, 1, vcc_lo
	v_sub_nc_u32_e32 v4, 0x3f1, v10
	v_add_nc_u32_e32 v10, 0xfffffc10, v10
	v_and_or_b32 v6, 0xffe, v9, v6
	v_med3_i32 v9, v11, 0, 13
	v_or_b32_e32 v11, 0x1000, v2
	v_med3_i32 v4, v4, 0, 13
	v_or_b32_e32 v12, 0x1000, v6
	v_lshrrev_b32_e32 v13, v9, v11
	v_lshrrev_b32_e32 v14, v4, v12
	v_lshlrev_b32_e32 v9, v9, v13
	v_lshlrev_b32_e32 v4, v4, v14
	v_cmp_ne_u32_e32 vcc_lo, v9, v11
	v_lshl_or_b32 v11, v8, 12, v2
	v_cndmask_b32_e64 v9, 0, 1, vcc_lo
	v_cmp_ne_u32_e32 vcc_lo, v4, v12
	v_lshl_or_b32 v12, v10, 12, v6
	v_or_b32_e32 v9, v13, v9
	v_cndmask_b32_e64 v4, 0, 1, vcc_lo
	v_cmp_gt_i32_e32 vcc_lo, 1, v8
	v_or_b32_e32 v4, v14, v4
	v_cndmask_b32_e32 v9, v11, v9, vcc_lo
	v_cmp_gt_i32_e32 vcc_lo, 1, v10
	v_and_b32_e32 v11, 7, v9
	v_cndmask_b32_e32 v4, v12, v4, vcc_lo
	v_cmp_ne_u32_e32 vcc_lo, 0, v2
	v_lshrrev_b32_e32 v9, 2, v9
	v_cmp_eq_u32_e64 s0, 3, v11
	v_and_b32_e32 v12, 7, v4
	v_cndmask_b32_e64 v2, 0, 1, vcc_lo
	v_cmp_ne_u32_e32 vcc_lo, 0, v6
	v_lshrrev_b32_e32 v4, 2, v4
	v_cmp_lt_i32_e64 s1, 5, v12
	v_cmp_eq_u32_e64 s2, 3, v12
	v_cndmask_b32_e64 v6, 0, 1, vcc_lo
	v_cmp_lt_i32_e32 vcc_lo, 5, v11
	v_lshl_or_b32 v2, v2, 9, 0x7c00
	v_lshl_or_b32 v6, v6, 9, 0x7c00
	s_or_b32 vcc_lo, s0, vcc_lo
	v_add_co_ci_u32_e32 v9, vcc_lo, 0, v9, vcc_lo
	s_or_b32 vcc_lo, s2, s1
	v_add_co_ci_u32_e32 v4, vcc_lo, 0, v4, vcc_lo
	v_cmp_gt_i32_e32 vcc_lo, 31, v8
	v_cndmask_b32_e32 v9, 0x7c00, v9, vcc_lo
	v_cmp_gt_i32_e32 vcc_lo, 31, v10
	v_cndmask_b32_e32 v4, 0x7c00, v4, vcc_lo
	v_cmp_eq_u32_e32 vcc_lo, 0x40f, v8
	v_cndmask_b32_e32 v2, v9, v2, vcc_lo
	v_cmp_eq_u32_e32 vcc_lo, 0x40f, v10
	v_and_or_b32 v2, 0x8000, v5, v2
	v_cndmask_b32_e32 v4, v4, v6, vcc_lo
	v_add_co_u32 v0, vcc_lo, v0, s6
	v_add_co_ci_u32_e32 v1, vcc_lo, s7, v1, vcc_lo
	v_and_or_b32 v4, 0x8000, v7, v4
	v_and_b32_e32 v2, 0xffff, v2
	v_lshl_or_b32 v2, v4, 16, v2
	v_lshrrev_b32_e32 v4, 16, v3
	global_store_dword v[0:1], v2, off
	global_load_dword v2, v[46:47], off offset:1372
	s_waitcnt vmcnt(0)
	v_mul_f16_sdwa v5, v4, v2 dst_sel:DWORD dst_unused:UNUSED_PAD src0_sel:DWORD src1_sel:WORD_1
	v_mul_f16_sdwa v6, v3, v2 dst_sel:DWORD dst_unused:UNUSED_PAD src0_sel:DWORD src1_sel:WORD_1
	v_fmac_f16_e32 v5, v3, v2
	v_fma_f16 v2, v2, v4, -v6
	v_cvt_f32_f16_e32 v3, v5
	v_cvt_f32_f16_e32 v4, v2
	v_cvt_f64_f32_e32 v[2:3], v3
	v_cvt_f64_f32_e32 v[4:5], v4
	v_mul_f64 v[2:3], v[2:3], s[4:5]
	v_mul_f64 v[4:5], v[4:5], s[4:5]
	v_and_or_b32 v2, 0x1ff, v3, v2
	v_and_or_b32 v4, 0x1ff, v5, v4
	v_lshrrev_b32_e32 v6, 8, v3
	v_bfe_u32 v7, v3, 20, 11
	v_lshrrev_b32_e32 v8, 8, v5
	v_cmp_ne_u32_e32 vcc_lo, 0, v2
	v_bfe_u32 v9, v5, 20, 11
	v_lshrrev_b32_e32 v3, 16, v3
	v_sub_nc_u32_e32 v10, 0x3f1, v7
	v_add_nc_u32_e32 v7, 0xfffffc10, v7
	v_cndmask_b32_e64 v2, 0, 1, vcc_lo
	v_cmp_ne_u32_e32 vcc_lo, 0, v4
	v_lshrrev_b32_e32 v5, 16, v5
	v_and_or_b32 v2, 0xffe, v6, v2
	v_cndmask_b32_e64 v4, 0, 1, vcc_lo
	v_sub_nc_u32_e32 v6, 0x3f1, v9
	v_add_nc_u32_e32 v9, 0xfffffc10, v9
	v_and_or_b32 v4, 0xffe, v8, v4
	v_med3_i32 v8, v10, 0, 13
	v_or_b32_e32 v10, 0x1000, v2
	v_med3_i32 v6, v6, 0, 13
	v_or_b32_e32 v11, 0x1000, v4
	v_lshrrev_b32_e32 v12, v8, v10
	v_lshrrev_b32_e32 v13, v6, v11
	v_lshlrev_b32_e32 v8, v8, v12
	v_lshlrev_b32_e32 v6, v6, v13
	v_cmp_ne_u32_e32 vcc_lo, v8, v10
	v_lshl_or_b32 v10, v7, 12, v2
	v_cndmask_b32_e64 v8, 0, 1, vcc_lo
	v_cmp_ne_u32_e32 vcc_lo, v6, v11
	v_lshl_or_b32 v11, v9, 12, v4
	v_or_b32_e32 v8, v12, v8
	v_cndmask_b32_e64 v6, 0, 1, vcc_lo
	v_cmp_gt_i32_e32 vcc_lo, 1, v7
	v_or_b32_e32 v6, v13, v6
	v_cndmask_b32_e32 v8, v10, v8, vcc_lo
	v_cmp_gt_i32_e32 vcc_lo, 1, v9
	v_and_b32_e32 v10, 7, v8
	v_cndmask_b32_e32 v6, v11, v6, vcc_lo
	v_cmp_ne_u32_e32 vcc_lo, 0, v2
	v_lshrrev_b32_e32 v8, 2, v8
	v_cmp_eq_u32_e64 s0, 3, v10
	v_and_b32_e32 v11, 7, v6
	v_cndmask_b32_e64 v2, 0, 1, vcc_lo
	v_cmp_ne_u32_e32 vcc_lo, 0, v4
	v_lshrrev_b32_e32 v6, 2, v6
	v_cmp_lt_i32_e64 s1, 5, v11
	v_cmp_eq_u32_e64 s2, 3, v11
	v_cndmask_b32_e64 v4, 0, 1, vcc_lo
	v_cmp_lt_i32_e32 vcc_lo, 5, v10
	v_lshl_or_b32 v2, v2, 9, 0x7c00
	v_lshl_or_b32 v4, v4, 9, 0x7c00
	s_or_b32 vcc_lo, s0, vcc_lo
	v_add_co_ci_u32_e32 v8, vcc_lo, 0, v8, vcc_lo
	s_or_b32 vcc_lo, s2, s1
	v_add_co_ci_u32_e32 v6, vcc_lo, 0, v6, vcc_lo
	v_cmp_gt_i32_e32 vcc_lo, 31, v7
	v_cndmask_b32_e32 v8, 0x7c00, v8, vcc_lo
	v_cmp_gt_i32_e32 vcc_lo, 31, v9
	v_cndmask_b32_e32 v6, 0x7c00, v6, vcc_lo
	v_cmp_eq_u32_e32 vcc_lo, 0x40f, v7
	v_cndmask_b32_e32 v2, v8, v2, vcc_lo
	v_cmp_eq_u32_e32 vcc_lo, 0x40f, v9
	v_and_or_b32 v2, 0x8000, v3, v2
	v_cndmask_b32_e32 v4, v6, v4, vcc_lo
	v_add_co_u32 v0, vcc_lo, v0, s6
	v_add_co_ci_u32_e32 v1, vcc_lo, s7, v1, vcc_lo
	v_and_or_b32 v3, 0x8000, v5, v4
	v_and_b32_e32 v2, 0xffff, v2
	v_lshl_or_b32 v2, v3, 16, v2
	global_store_dword v[0:1], v2, off
	global_load_dword v4, v[44:45], off offset:224
	v_add_nc_u32_e32 v2, 0x1080, v118
	ds_read2_b32 v[2:3], v2 offset0:24 offset1:249
	s_waitcnt lgkmcnt(0)
	v_lshrrev_b32_e32 v5, 16, v2
	s_waitcnt vmcnt(0)
	v_mul_f16_sdwa v6, v5, v4 dst_sel:DWORD dst_unused:UNUSED_PAD src0_sel:DWORD src1_sel:WORD_1
	v_mul_f16_sdwa v7, v2, v4 dst_sel:DWORD dst_unused:UNUSED_PAD src0_sel:DWORD src1_sel:WORD_1
	v_fmac_f16_e32 v6, v2, v4
	v_fma_f16 v2, v4, v5, -v7
	v_cvt_f32_f16_e32 v4, v6
	v_cvt_f32_f16_e32 v2, v2
	v_cvt_f64_f32_e32 v[4:5], v4
	v_cvt_f64_f32_e32 v[6:7], v2
	v_mul_f64 v[4:5], v[4:5], s[4:5]
	v_mul_f64 v[6:7], v[6:7], s[4:5]
	v_and_or_b32 v2, 0x1ff, v5, v4
	v_and_or_b32 v6, 0x1ff, v7, v6
	v_lshrrev_b32_e32 v4, 8, v5
	v_bfe_u32 v8, v5, 20, 11
	v_lshrrev_b32_e32 v9, 8, v7
	v_cmp_ne_u32_e32 vcc_lo, 0, v2
	v_bfe_u32 v10, v7, 20, 11
	v_lshrrev_b32_e32 v5, 16, v5
	v_sub_nc_u32_e32 v11, 0x3f1, v8
	v_add_nc_u32_e32 v8, 0xfffffc10, v8
	v_cndmask_b32_e64 v2, 0, 1, vcc_lo
	v_cmp_ne_u32_e32 vcc_lo, 0, v6
	v_lshrrev_b32_e32 v7, 16, v7
	v_and_or_b32 v2, 0xffe, v4, v2
	v_cndmask_b32_e64 v6, 0, 1, vcc_lo
	v_sub_nc_u32_e32 v4, 0x3f1, v10
	v_add_nc_u32_e32 v10, 0xfffffc10, v10
	v_and_or_b32 v6, 0xffe, v9, v6
	v_med3_i32 v9, v11, 0, 13
	v_or_b32_e32 v11, 0x1000, v2
	v_med3_i32 v4, v4, 0, 13
	v_or_b32_e32 v12, 0x1000, v6
	v_lshrrev_b32_e32 v13, v9, v11
	v_lshrrev_b32_e32 v14, v4, v12
	v_lshlrev_b32_e32 v9, v9, v13
	v_lshlrev_b32_e32 v4, v4, v14
	v_cmp_ne_u32_e32 vcc_lo, v9, v11
	v_lshl_or_b32 v11, v8, 12, v2
	v_cndmask_b32_e64 v9, 0, 1, vcc_lo
	v_cmp_ne_u32_e32 vcc_lo, v4, v12
	v_lshl_or_b32 v12, v10, 12, v6
	v_or_b32_e32 v9, v13, v9
	v_cndmask_b32_e64 v4, 0, 1, vcc_lo
	v_cmp_gt_i32_e32 vcc_lo, 1, v8
	v_or_b32_e32 v4, v14, v4
	v_cndmask_b32_e32 v9, v11, v9, vcc_lo
	v_cmp_gt_i32_e32 vcc_lo, 1, v10
	v_and_b32_e32 v11, 7, v9
	v_cndmask_b32_e32 v4, v12, v4, vcc_lo
	v_cmp_ne_u32_e32 vcc_lo, 0, v2
	v_lshrrev_b32_e32 v9, 2, v9
	v_cmp_eq_u32_e64 s0, 3, v11
	v_and_b32_e32 v12, 7, v4
	v_cndmask_b32_e64 v2, 0, 1, vcc_lo
	v_cmp_ne_u32_e32 vcc_lo, 0, v6
	v_lshrrev_b32_e32 v4, 2, v4
	v_cmp_lt_i32_e64 s1, 5, v12
	v_cmp_eq_u32_e64 s2, 3, v12
	v_cndmask_b32_e64 v6, 0, 1, vcc_lo
	v_cmp_lt_i32_e32 vcc_lo, 5, v11
	v_lshl_or_b32 v2, v2, 9, 0x7c00
	v_lshl_or_b32 v6, v6, 9, 0x7c00
	s_or_b32 vcc_lo, s0, vcc_lo
	v_add_co_ci_u32_e32 v9, vcc_lo, 0, v9, vcc_lo
	s_or_b32 vcc_lo, s2, s1
	v_add_co_ci_u32_e32 v4, vcc_lo, 0, v4, vcc_lo
	v_cmp_gt_i32_e32 vcc_lo, 31, v8
	v_cndmask_b32_e32 v9, 0x7c00, v9, vcc_lo
	v_cmp_gt_i32_e32 vcc_lo, 31, v10
	v_cndmask_b32_e32 v4, 0x7c00, v4, vcc_lo
	v_cmp_eq_u32_e32 vcc_lo, 0x40f, v8
	v_cndmask_b32_e32 v2, v9, v2, vcc_lo
	v_cmp_eq_u32_e32 vcc_lo, 0x40f, v10
	v_and_or_b32 v2, 0x8000, v5, v2
	v_cndmask_b32_e32 v4, v4, v6, vcc_lo
	v_add_co_u32 v0, vcc_lo, v0, s6
	v_add_co_ci_u32_e32 v1, vcc_lo, s7, v1, vcc_lo
	v_and_or_b32 v4, 0x8000, v7, v4
	v_and_b32_e32 v2, 0xffff, v2
	v_lshl_or_b32 v2, v4, 16, v2
	v_lshrrev_b32_e32 v4, 16, v3
	global_store_dword v[0:1], v2, off
	global_load_dword v2, v[44:45], off offset:1124
	s_waitcnt vmcnt(0)
	v_mul_f16_sdwa v5, v4, v2 dst_sel:DWORD dst_unused:UNUSED_PAD src0_sel:DWORD src1_sel:WORD_1
	v_mul_f16_sdwa v6, v3, v2 dst_sel:DWORD dst_unused:UNUSED_PAD src0_sel:DWORD src1_sel:WORD_1
	v_fmac_f16_e32 v5, v3, v2
	v_fma_f16 v2, v2, v4, -v6
	v_cvt_f32_f16_e32 v3, v5
	v_cvt_f32_f16_e32 v4, v2
	v_cvt_f64_f32_e32 v[2:3], v3
	v_cvt_f64_f32_e32 v[4:5], v4
	v_mul_f64 v[2:3], v[2:3], s[4:5]
	v_mul_f64 v[4:5], v[4:5], s[4:5]
	v_and_or_b32 v2, 0x1ff, v3, v2
	v_and_or_b32 v4, 0x1ff, v5, v4
	v_lshrrev_b32_e32 v6, 8, v3
	v_bfe_u32 v7, v3, 20, 11
	v_lshrrev_b32_e32 v8, 8, v5
	v_cmp_ne_u32_e32 vcc_lo, 0, v2
	v_bfe_u32 v9, v5, 20, 11
	v_lshrrev_b32_e32 v3, 16, v3
	v_sub_nc_u32_e32 v10, 0x3f1, v7
	v_add_nc_u32_e32 v7, 0xfffffc10, v7
	v_cndmask_b32_e64 v2, 0, 1, vcc_lo
	v_cmp_ne_u32_e32 vcc_lo, 0, v4
	v_lshrrev_b32_e32 v5, 16, v5
	v_and_or_b32 v2, 0xffe, v6, v2
	v_cndmask_b32_e64 v4, 0, 1, vcc_lo
	v_sub_nc_u32_e32 v6, 0x3f1, v9
	v_add_nc_u32_e32 v9, 0xfffffc10, v9
	v_and_or_b32 v4, 0xffe, v8, v4
	v_med3_i32 v8, v10, 0, 13
	v_or_b32_e32 v10, 0x1000, v2
	v_med3_i32 v6, v6, 0, 13
	v_or_b32_e32 v11, 0x1000, v4
	v_lshrrev_b32_e32 v12, v8, v10
	v_lshrrev_b32_e32 v13, v6, v11
	v_lshlrev_b32_e32 v8, v8, v12
	v_lshlrev_b32_e32 v6, v6, v13
	v_cmp_ne_u32_e32 vcc_lo, v8, v10
	v_lshl_or_b32 v10, v7, 12, v2
	v_cndmask_b32_e64 v8, 0, 1, vcc_lo
	v_cmp_ne_u32_e32 vcc_lo, v6, v11
	v_lshl_or_b32 v11, v9, 12, v4
	v_or_b32_e32 v8, v12, v8
	v_cndmask_b32_e64 v6, 0, 1, vcc_lo
	v_cmp_gt_i32_e32 vcc_lo, 1, v7
	v_or_b32_e32 v6, v13, v6
	v_cndmask_b32_e32 v8, v10, v8, vcc_lo
	v_cmp_gt_i32_e32 vcc_lo, 1, v9
	v_and_b32_e32 v10, 7, v8
	v_cndmask_b32_e32 v6, v11, v6, vcc_lo
	v_cmp_ne_u32_e32 vcc_lo, 0, v2
	v_lshrrev_b32_e32 v8, 2, v8
	v_cmp_eq_u32_e64 s0, 3, v10
	v_and_b32_e32 v11, 7, v6
	v_cndmask_b32_e64 v2, 0, 1, vcc_lo
	v_cmp_ne_u32_e32 vcc_lo, 0, v4
	v_lshrrev_b32_e32 v6, 2, v6
	v_cmp_lt_i32_e64 s1, 5, v11
	v_cmp_eq_u32_e64 s2, 3, v11
	v_cndmask_b32_e64 v4, 0, 1, vcc_lo
	v_cmp_lt_i32_e32 vcc_lo, 5, v10
	v_lshl_or_b32 v2, v2, 9, 0x7c00
	v_lshl_or_b32 v4, v4, 9, 0x7c00
	s_or_b32 vcc_lo, s0, vcc_lo
	v_add_co_ci_u32_e32 v8, vcc_lo, 0, v8, vcc_lo
	s_or_b32 vcc_lo, s2, s1
	v_add_co_ci_u32_e32 v6, vcc_lo, 0, v6, vcc_lo
	v_cmp_gt_i32_e32 vcc_lo, 31, v7
	v_cndmask_b32_e32 v8, 0x7c00, v8, vcc_lo
	v_cmp_gt_i32_e32 vcc_lo, 31, v9
	v_cndmask_b32_e32 v6, 0x7c00, v6, vcc_lo
	v_cmp_eq_u32_e32 vcc_lo, 0x40f, v7
	v_cndmask_b32_e32 v2, v8, v2, vcc_lo
	v_cmp_eq_u32_e32 vcc_lo, 0x40f, v9
	v_and_or_b32 v2, 0x8000, v3, v2
	v_cndmask_b32_e32 v4, v6, v4, vcc_lo
	v_add_co_u32 v0, vcc_lo, v0, s6
	v_add_co_ci_u32_e32 v1, vcc_lo, s7, v1, vcc_lo
	v_and_or_b32 v3, 0x8000, v5, v4
	v_and_b32_e32 v2, 0xffff, v2
	v_lshl_or_b32 v2, v3, 16, v2
	global_store_dword v[0:1], v2, off
	global_load_dword v4, v[44:45], off offset:2024
	v_add_nc_u32_e32 v2, 0x1780, v118
	ds_read2_b32 v[2:3], v2 offset0:26 offset1:251
	s_waitcnt lgkmcnt(0)
	v_lshrrev_b32_e32 v5, 16, v2
	s_waitcnt vmcnt(0)
	v_mul_f16_sdwa v6, v5, v4 dst_sel:DWORD dst_unused:UNUSED_PAD src0_sel:DWORD src1_sel:WORD_1
	v_mul_f16_sdwa v7, v2, v4 dst_sel:DWORD dst_unused:UNUSED_PAD src0_sel:DWORD src1_sel:WORD_1
	v_fmac_f16_e32 v6, v2, v4
	v_fma_f16 v2, v4, v5, -v7
	v_cvt_f32_f16_e32 v4, v6
	v_cvt_f32_f16_e32 v2, v2
	v_cvt_f64_f32_e32 v[4:5], v4
	v_cvt_f64_f32_e32 v[6:7], v2
	v_mul_f64 v[4:5], v[4:5], s[4:5]
	v_mul_f64 v[6:7], v[6:7], s[4:5]
	v_and_or_b32 v2, 0x1ff, v5, v4
	v_and_or_b32 v6, 0x1ff, v7, v6
	v_lshrrev_b32_e32 v4, 8, v5
	v_bfe_u32 v8, v5, 20, 11
	v_lshrrev_b32_e32 v9, 8, v7
	v_cmp_ne_u32_e32 vcc_lo, 0, v2
	v_bfe_u32 v10, v7, 20, 11
	v_lshrrev_b32_e32 v5, 16, v5
	v_sub_nc_u32_e32 v11, 0x3f1, v8
	v_add_nc_u32_e32 v8, 0xfffffc10, v8
	v_cndmask_b32_e64 v2, 0, 1, vcc_lo
	v_cmp_ne_u32_e32 vcc_lo, 0, v6
	v_lshrrev_b32_e32 v7, 16, v7
	v_and_or_b32 v2, 0xffe, v4, v2
	v_cndmask_b32_e64 v6, 0, 1, vcc_lo
	v_sub_nc_u32_e32 v4, 0x3f1, v10
	v_add_nc_u32_e32 v10, 0xfffffc10, v10
	v_and_or_b32 v6, 0xffe, v9, v6
	v_med3_i32 v9, v11, 0, 13
	v_or_b32_e32 v11, 0x1000, v2
	v_med3_i32 v4, v4, 0, 13
	v_or_b32_e32 v12, 0x1000, v6
	v_lshrrev_b32_e32 v13, v9, v11
	v_lshrrev_b32_e32 v14, v4, v12
	v_lshlrev_b32_e32 v9, v9, v13
	v_lshlrev_b32_e32 v4, v4, v14
	v_cmp_ne_u32_e32 vcc_lo, v9, v11
	v_lshl_or_b32 v11, v8, 12, v2
	v_cndmask_b32_e64 v9, 0, 1, vcc_lo
	v_cmp_ne_u32_e32 vcc_lo, v4, v12
	v_lshl_or_b32 v12, v10, 12, v6
	v_or_b32_e32 v9, v13, v9
	v_cndmask_b32_e64 v4, 0, 1, vcc_lo
	v_cmp_gt_i32_e32 vcc_lo, 1, v8
	v_or_b32_e32 v4, v14, v4
	v_cndmask_b32_e32 v9, v11, v9, vcc_lo
	v_cmp_gt_i32_e32 vcc_lo, 1, v10
	v_and_b32_e32 v11, 7, v9
	v_cndmask_b32_e32 v4, v12, v4, vcc_lo
	v_cmp_ne_u32_e32 vcc_lo, 0, v2
	v_lshrrev_b32_e32 v9, 2, v9
	v_cmp_eq_u32_e64 s0, 3, v11
	v_and_b32_e32 v12, 7, v4
	v_cndmask_b32_e64 v2, 0, 1, vcc_lo
	v_cmp_ne_u32_e32 vcc_lo, 0, v6
	v_lshrrev_b32_e32 v4, 2, v4
	v_cmp_lt_i32_e64 s1, 5, v12
	v_cmp_eq_u32_e64 s2, 3, v12
	v_cndmask_b32_e64 v6, 0, 1, vcc_lo
	v_cmp_lt_i32_e32 vcc_lo, 5, v11
	v_lshl_or_b32 v2, v2, 9, 0x7c00
	v_lshl_or_b32 v6, v6, 9, 0x7c00
	s_or_b32 vcc_lo, s0, vcc_lo
	v_add_co_ci_u32_e32 v9, vcc_lo, 0, v9, vcc_lo
	s_or_b32 vcc_lo, s2, s1
	v_add_co_ci_u32_e32 v4, vcc_lo, 0, v4, vcc_lo
	v_cmp_gt_i32_e32 vcc_lo, 31, v8
	v_cndmask_b32_e32 v9, 0x7c00, v9, vcc_lo
	v_cmp_gt_i32_e32 vcc_lo, 31, v10
	v_cndmask_b32_e32 v4, 0x7c00, v4, vcc_lo
	v_cmp_eq_u32_e32 vcc_lo, 0x40f, v8
	v_cndmask_b32_e32 v2, v9, v2, vcc_lo
	v_cmp_eq_u32_e32 vcc_lo, 0x40f, v10
	v_and_or_b32 v2, 0x8000, v5, v2
	v_cndmask_b32_e32 v4, v4, v6, vcc_lo
	v_add_co_u32 v0, vcc_lo, v0, s6
	v_add_co_ci_u32_e32 v1, vcc_lo, s7, v1, vcc_lo
	v_and_or_b32 v4, 0x8000, v7, v4
	v_and_b32_e32 v2, 0xffff, v2
	v_lshl_or_b32 v2, v4, 16, v2
	v_lshrrev_b32_e32 v4, 16, v3
	global_store_dword v[0:1], v2, off
	global_load_dword v2, v[40:41], off offset:876
	s_waitcnt vmcnt(0)
	v_mul_f16_sdwa v5, v4, v2 dst_sel:DWORD dst_unused:UNUSED_PAD src0_sel:DWORD src1_sel:WORD_1
	v_mul_f16_sdwa v6, v3, v2 dst_sel:DWORD dst_unused:UNUSED_PAD src0_sel:DWORD src1_sel:WORD_1
	v_fmac_f16_e32 v5, v3, v2
	v_fma_f16 v2, v2, v4, -v6
	v_cvt_f32_f16_e32 v3, v5
	v_cvt_f32_f16_e32 v4, v2
	v_cvt_f64_f32_e32 v[2:3], v3
	v_cvt_f64_f32_e32 v[4:5], v4
	v_mul_f64 v[2:3], v[2:3], s[4:5]
	v_mul_f64 v[4:5], v[4:5], s[4:5]
	v_and_or_b32 v2, 0x1ff, v3, v2
	v_and_or_b32 v4, 0x1ff, v5, v4
	v_lshrrev_b32_e32 v6, 8, v3
	v_bfe_u32 v7, v3, 20, 11
	v_lshrrev_b32_e32 v8, 8, v5
	v_cmp_ne_u32_e32 vcc_lo, 0, v2
	v_bfe_u32 v9, v5, 20, 11
	v_lshrrev_b32_e32 v3, 16, v3
	v_sub_nc_u32_e32 v10, 0x3f1, v7
	v_add_nc_u32_e32 v7, 0xfffffc10, v7
	v_cndmask_b32_e64 v2, 0, 1, vcc_lo
	v_cmp_ne_u32_e32 vcc_lo, 0, v4
	v_lshrrev_b32_e32 v5, 16, v5
	v_and_or_b32 v2, 0xffe, v6, v2
	v_cndmask_b32_e64 v4, 0, 1, vcc_lo
	v_sub_nc_u32_e32 v6, 0x3f1, v9
	v_add_nc_u32_e32 v9, 0xfffffc10, v9
	v_and_or_b32 v4, 0xffe, v8, v4
	v_med3_i32 v8, v10, 0, 13
	v_or_b32_e32 v10, 0x1000, v2
	v_med3_i32 v6, v6, 0, 13
	v_or_b32_e32 v11, 0x1000, v4
	v_lshrrev_b32_e32 v12, v8, v10
	v_lshrrev_b32_e32 v13, v6, v11
	v_lshlrev_b32_e32 v8, v8, v12
	v_lshlrev_b32_e32 v6, v6, v13
	v_cmp_ne_u32_e32 vcc_lo, v8, v10
	v_lshl_or_b32 v10, v7, 12, v2
	v_cndmask_b32_e64 v8, 0, 1, vcc_lo
	v_cmp_ne_u32_e32 vcc_lo, v6, v11
	v_lshl_or_b32 v11, v9, 12, v4
	v_or_b32_e32 v8, v12, v8
	v_cndmask_b32_e64 v6, 0, 1, vcc_lo
	v_cmp_gt_i32_e32 vcc_lo, 1, v7
	v_or_b32_e32 v6, v13, v6
	v_cndmask_b32_e32 v8, v10, v8, vcc_lo
	v_cmp_gt_i32_e32 vcc_lo, 1, v9
	v_and_b32_e32 v10, 7, v8
	v_cndmask_b32_e32 v6, v11, v6, vcc_lo
	v_cmp_ne_u32_e32 vcc_lo, 0, v2
	v_lshrrev_b32_e32 v8, 2, v8
	v_cmp_eq_u32_e64 s0, 3, v10
	v_and_b32_e32 v11, 7, v6
	v_cndmask_b32_e64 v2, 0, 1, vcc_lo
	v_cmp_ne_u32_e32 vcc_lo, 0, v4
	v_lshrrev_b32_e32 v6, 2, v6
	v_cmp_lt_i32_e64 s1, 5, v11
	v_cmp_eq_u32_e64 s2, 3, v11
	v_cndmask_b32_e64 v4, 0, 1, vcc_lo
	v_cmp_lt_i32_e32 vcc_lo, 5, v10
	v_lshl_or_b32 v2, v2, 9, 0x7c00
	v_lshl_or_b32 v4, v4, 9, 0x7c00
	s_or_b32 vcc_lo, s0, vcc_lo
	v_add_co_ci_u32_e32 v8, vcc_lo, 0, v8, vcc_lo
	s_or_b32 vcc_lo, s2, s1
	v_add_co_ci_u32_e32 v6, vcc_lo, 0, v6, vcc_lo
	v_cmp_gt_i32_e32 vcc_lo, 31, v7
	v_cndmask_b32_e32 v8, 0x7c00, v8, vcc_lo
	v_cmp_gt_i32_e32 vcc_lo, 31, v9
	v_cndmask_b32_e32 v6, 0x7c00, v6, vcc_lo
	v_cmp_eq_u32_e32 vcc_lo, 0x40f, v7
	v_cndmask_b32_e32 v2, v8, v2, vcc_lo
	v_cmp_eq_u32_e32 vcc_lo, 0x40f, v9
	v_and_or_b32 v2, 0x8000, v3, v2
	v_cndmask_b32_e32 v4, v6, v4, vcc_lo
	v_add_co_u32 v0, vcc_lo, v0, s6
	v_add_co_ci_u32_e32 v1, vcc_lo, s7, v1, vcc_lo
	v_and_or_b32 v3, 0x8000, v5, v4
	v_and_b32_e32 v2, 0xffff, v2
	v_lshl_or_b32 v2, v3, 16, v2
	global_store_dword v[0:1], v2, off
	global_load_dword v4, v[40:41], off offset:1776
	v_add_nc_u32_e32 v2, 0x1e80, v118
	ds_read2_b32 v[2:3], v2 offset0:28 offset1:253
	s_waitcnt lgkmcnt(0)
	v_lshrrev_b32_e32 v5, 16, v2
	s_waitcnt vmcnt(0)
	v_mul_f16_sdwa v6, v5, v4 dst_sel:DWORD dst_unused:UNUSED_PAD src0_sel:DWORD src1_sel:WORD_1
	v_mul_f16_sdwa v7, v2, v4 dst_sel:DWORD dst_unused:UNUSED_PAD src0_sel:DWORD src1_sel:WORD_1
	v_fmac_f16_e32 v6, v2, v4
	v_fma_f16 v2, v4, v5, -v7
	v_cvt_f32_f16_e32 v4, v6
	v_cvt_f32_f16_e32 v2, v2
	v_cvt_f64_f32_e32 v[4:5], v4
	v_cvt_f64_f32_e32 v[6:7], v2
	v_mul_f64 v[4:5], v[4:5], s[4:5]
	v_mul_f64 v[6:7], v[6:7], s[4:5]
	v_and_or_b32 v2, 0x1ff, v5, v4
	v_and_or_b32 v6, 0x1ff, v7, v6
	v_lshrrev_b32_e32 v4, 8, v5
	v_bfe_u32 v8, v5, 20, 11
	v_lshrrev_b32_e32 v9, 8, v7
	v_cmp_ne_u32_e32 vcc_lo, 0, v2
	v_bfe_u32 v10, v7, 20, 11
	v_lshrrev_b32_e32 v5, 16, v5
	v_sub_nc_u32_e32 v11, 0x3f1, v8
	v_add_nc_u32_e32 v8, 0xfffffc10, v8
	v_cndmask_b32_e64 v2, 0, 1, vcc_lo
	v_cmp_ne_u32_e32 vcc_lo, 0, v6
	v_lshrrev_b32_e32 v7, 16, v7
	v_and_or_b32 v2, 0xffe, v4, v2
	v_cndmask_b32_e64 v6, 0, 1, vcc_lo
	v_sub_nc_u32_e32 v4, 0x3f1, v10
	v_add_nc_u32_e32 v10, 0xfffffc10, v10
	v_and_or_b32 v6, 0xffe, v9, v6
	v_med3_i32 v9, v11, 0, 13
	v_or_b32_e32 v11, 0x1000, v2
	v_med3_i32 v4, v4, 0, 13
	v_or_b32_e32 v12, 0x1000, v6
	v_lshrrev_b32_e32 v13, v9, v11
	v_lshrrev_b32_e32 v14, v4, v12
	v_lshlrev_b32_e32 v9, v9, v13
	v_lshlrev_b32_e32 v4, v4, v14
	v_cmp_ne_u32_e32 vcc_lo, v9, v11
	v_lshl_or_b32 v11, v8, 12, v2
	v_cndmask_b32_e64 v9, 0, 1, vcc_lo
	v_cmp_ne_u32_e32 vcc_lo, v4, v12
	v_lshl_or_b32 v12, v10, 12, v6
	v_or_b32_e32 v9, v13, v9
	v_cndmask_b32_e64 v4, 0, 1, vcc_lo
	v_cmp_gt_i32_e32 vcc_lo, 1, v8
	v_or_b32_e32 v4, v14, v4
	v_cndmask_b32_e32 v9, v11, v9, vcc_lo
	v_cmp_gt_i32_e32 vcc_lo, 1, v10
	v_and_b32_e32 v11, 7, v9
	v_cndmask_b32_e32 v4, v12, v4, vcc_lo
	v_cmp_ne_u32_e32 vcc_lo, 0, v2
	v_lshrrev_b32_e32 v9, 2, v9
	v_cmp_eq_u32_e64 s0, 3, v11
	v_and_b32_e32 v12, 7, v4
	v_cndmask_b32_e64 v2, 0, 1, vcc_lo
	v_cmp_ne_u32_e32 vcc_lo, 0, v6
	v_lshrrev_b32_e32 v4, 2, v4
	v_cmp_lt_i32_e64 s1, 5, v12
	v_cmp_eq_u32_e64 s2, 3, v12
	v_cndmask_b32_e64 v6, 0, 1, vcc_lo
	v_cmp_lt_i32_e32 vcc_lo, 5, v11
	v_lshl_or_b32 v2, v2, 9, 0x7c00
	v_lshl_or_b32 v6, v6, 9, 0x7c00
	s_or_b32 vcc_lo, s0, vcc_lo
	v_add_co_ci_u32_e32 v9, vcc_lo, 0, v9, vcc_lo
	s_or_b32 vcc_lo, s2, s1
	v_add_co_ci_u32_e32 v4, vcc_lo, 0, v4, vcc_lo
	v_cmp_gt_i32_e32 vcc_lo, 31, v8
	v_cndmask_b32_e32 v9, 0x7c00, v9, vcc_lo
	v_cmp_gt_i32_e32 vcc_lo, 31, v10
	v_cndmask_b32_e32 v4, 0x7c00, v4, vcc_lo
	v_cmp_eq_u32_e32 vcc_lo, 0x40f, v8
	v_cndmask_b32_e32 v2, v9, v2, vcc_lo
	v_cmp_eq_u32_e32 vcc_lo, 0x40f, v10
	v_and_or_b32 v2, 0x8000, v5, v2
	v_cndmask_b32_e32 v4, v4, v6, vcc_lo
	v_add_co_u32 v0, vcc_lo, v0, s6
	v_add_co_ci_u32_e32 v1, vcc_lo, s7, v1, vcc_lo
	v_and_or_b32 v4, 0x8000, v7, v4
	v_and_b32_e32 v2, 0xffff, v2
	v_lshl_or_b32 v2, v4, 16, v2
	v_lshrrev_b32_e32 v4, 16, v3
	global_store_dword v[0:1], v2, off
	global_load_dword v2, v[42:43], off offset:628
	s_waitcnt vmcnt(0)
	v_mul_f16_sdwa v5, v4, v2 dst_sel:DWORD dst_unused:UNUSED_PAD src0_sel:DWORD src1_sel:WORD_1
	v_mul_f16_sdwa v6, v3, v2 dst_sel:DWORD dst_unused:UNUSED_PAD src0_sel:DWORD src1_sel:WORD_1
	v_fmac_f16_e32 v5, v3, v2
	v_fma_f16 v2, v2, v4, -v6
	v_cvt_f32_f16_e32 v3, v5
	v_cvt_f32_f16_e32 v4, v2
	v_cvt_f64_f32_e32 v[2:3], v3
	v_cvt_f64_f32_e32 v[4:5], v4
	v_mul_f64 v[2:3], v[2:3], s[4:5]
	v_mul_f64 v[4:5], v[4:5], s[4:5]
	v_and_or_b32 v2, 0x1ff, v3, v2
	v_and_or_b32 v4, 0x1ff, v5, v4
	v_lshrrev_b32_e32 v6, 8, v3
	v_bfe_u32 v7, v3, 20, 11
	v_lshrrev_b32_e32 v8, 8, v5
	v_cmp_ne_u32_e32 vcc_lo, 0, v2
	v_bfe_u32 v9, v5, 20, 11
	v_lshrrev_b32_e32 v3, 16, v3
	v_sub_nc_u32_e32 v10, 0x3f1, v7
	v_add_nc_u32_e32 v7, 0xfffffc10, v7
	v_cndmask_b32_e64 v2, 0, 1, vcc_lo
	v_cmp_ne_u32_e32 vcc_lo, 0, v4
	v_lshrrev_b32_e32 v5, 16, v5
	v_and_or_b32 v2, 0xffe, v6, v2
	v_cndmask_b32_e64 v4, 0, 1, vcc_lo
	v_sub_nc_u32_e32 v6, 0x3f1, v9
	v_add_nc_u32_e32 v9, 0xfffffc10, v9
	v_and_or_b32 v4, 0xffe, v8, v4
	v_med3_i32 v8, v10, 0, 13
	v_or_b32_e32 v10, 0x1000, v2
	v_med3_i32 v6, v6, 0, 13
	v_or_b32_e32 v11, 0x1000, v4
	v_lshrrev_b32_e32 v12, v8, v10
	v_lshrrev_b32_e32 v13, v6, v11
	v_lshlrev_b32_e32 v8, v8, v12
	v_lshlrev_b32_e32 v6, v6, v13
	v_cmp_ne_u32_e32 vcc_lo, v8, v10
	v_lshl_or_b32 v10, v7, 12, v2
	v_cndmask_b32_e64 v8, 0, 1, vcc_lo
	v_cmp_ne_u32_e32 vcc_lo, v6, v11
	v_lshl_or_b32 v11, v9, 12, v4
	v_or_b32_e32 v8, v12, v8
	v_cndmask_b32_e64 v6, 0, 1, vcc_lo
	v_cmp_gt_i32_e32 vcc_lo, 1, v7
	v_or_b32_e32 v6, v13, v6
	v_cndmask_b32_e32 v8, v10, v8, vcc_lo
	v_cmp_gt_i32_e32 vcc_lo, 1, v9
	v_and_b32_e32 v10, 7, v8
	v_cndmask_b32_e32 v6, v11, v6, vcc_lo
	v_cmp_ne_u32_e32 vcc_lo, 0, v2
	v_lshrrev_b32_e32 v8, 2, v8
	v_cmp_eq_u32_e64 s0, 3, v10
	v_and_b32_e32 v11, 7, v6
	v_cndmask_b32_e64 v2, 0, 1, vcc_lo
	v_cmp_ne_u32_e32 vcc_lo, 0, v4
	v_lshrrev_b32_e32 v6, 2, v6
	v_cmp_lt_i32_e64 s1, 5, v11
	v_cmp_eq_u32_e64 s2, 3, v11
	v_cndmask_b32_e64 v4, 0, 1, vcc_lo
	v_cmp_lt_i32_e32 vcc_lo, 5, v10
	v_lshl_or_b32 v2, v2, 9, 0x7c00
	v_lshl_or_b32 v4, v4, 9, 0x7c00
	s_or_b32 vcc_lo, s0, vcc_lo
	v_add_co_ci_u32_e32 v8, vcc_lo, 0, v8, vcc_lo
	s_or_b32 vcc_lo, s2, s1
	v_add_co_ci_u32_e32 v6, vcc_lo, 0, v6, vcc_lo
	v_cmp_gt_i32_e32 vcc_lo, 31, v7
	v_cndmask_b32_e32 v8, 0x7c00, v8, vcc_lo
	v_cmp_gt_i32_e32 vcc_lo, 31, v9
	v_cndmask_b32_e32 v6, 0x7c00, v6, vcc_lo
	v_cmp_eq_u32_e32 vcc_lo, 0x40f, v7
	v_cndmask_b32_e32 v2, v8, v2, vcc_lo
	v_cmp_eq_u32_e32 vcc_lo, 0x40f, v9
	v_and_or_b32 v2, 0x8000, v3, v2
	v_cndmask_b32_e32 v4, v6, v4, vcc_lo
	v_add_co_u32 v0, vcc_lo, v0, s6
	v_add_co_ci_u32_e32 v1, vcc_lo, s7, v1, vcc_lo
	v_and_or_b32 v3, 0x8000, v5, v4
	v_and_b32_e32 v2, 0xffff, v2
	v_lshl_or_b32 v2, v3, 16, v2
	global_store_dword v[0:1], v2, off
.LBB0_31:
	s_endpgm
	.section	.rodata,"a",@progbits
	.p2align	6, 0x0
	.amdhsa_kernel bluestein_single_fwd_len2250_dim1_half_op_CI_CI
		.amdhsa_group_segment_fixed_size 9000
		.amdhsa_private_segment_fixed_size 0
		.amdhsa_kernarg_size 104
		.amdhsa_user_sgpr_count 6
		.amdhsa_user_sgpr_private_segment_buffer 1
		.amdhsa_user_sgpr_dispatch_ptr 0
		.amdhsa_user_sgpr_queue_ptr 0
		.amdhsa_user_sgpr_kernarg_segment_ptr 1
		.amdhsa_user_sgpr_dispatch_id 0
		.amdhsa_user_sgpr_flat_scratch_init 0
		.amdhsa_user_sgpr_private_segment_size 0
		.amdhsa_wavefront_size32 1
		.amdhsa_uses_dynamic_stack 0
		.amdhsa_system_sgpr_private_segment_wavefront_offset 0
		.amdhsa_system_sgpr_workgroup_id_x 1
		.amdhsa_system_sgpr_workgroup_id_y 0
		.amdhsa_system_sgpr_workgroup_id_z 0
		.amdhsa_system_sgpr_workgroup_info 0
		.amdhsa_system_vgpr_workitem_id 0
		.amdhsa_next_free_vgpr 232
		.amdhsa_next_free_sgpr 16
		.amdhsa_reserve_vcc 1
		.amdhsa_reserve_flat_scratch 0
		.amdhsa_float_round_mode_32 0
		.amdhsa_float_round_mode_16_64 0
		.amdhsa_float_denorm_mode_32 3
		.amdhsa_float_denorm_mode_16_64 3
		.amdhsa_dx10_clamp 1
		.amdhsa_ieee_mode 1
		.amdhsa_fp16_overflow 0
		.amdhsa_workgroup_processor_mode 1
		.amdhsa_memory_ordered 1
		.amdhsa_forward_progress 0
		.amdhsa_shared_vgpr_count 0
		.amdhsa_exception_fp_ieee_invalid_op 0
		.amdhsa_exception_fp_denorm_src 0
		.amdhsa_exception_fp_ieee_div_zero 0
		.amdhsa_exception_fp_ieee_overflow 0
		.amdhsa_exception_fp_ieee_underflow 0
		.amdhsa_exception_fp_ieee_inexact 0
		.amdhsa_exception_int_div_zero 0
	.end_amdhsa_kernel
	.text
.Lfunc_end0:
	.size	bluestein_single_fwd_len2250_dim1_half_op_CI_CI, .Lfunc_end0-bluestein_single_fwd_len2250_dim1_half_op_CI_CI
                                        ; -- End function
	.section	.AMDGPU.csdata,"",@progbits
; Kernel info:
; codeLenInByte = 51328
; NumSgprs: 18
; NumVgprs: 232
; ScratchSize: 0
; MemoryBound: 0
; FloatMode: 240
; IeeeMode: 1
; LDSByteSize: 9000 bytes/workgroup (compile time only)
; SGPRBlocks: 2
; VGPRBlocks: 28
; NumSGPRsForWavesPerEU: 18
; NumVGPRsForWavesPerEU: 232
; Occupancy: 4
; WaveLimiterHint : 1
; COMPUTE_PGM_RSRC2:SCRATCH_EN: 0
; COMPUTE_PGM_RSRC2:USER_SGPR: 6
; COMPUTE_PGM_RSRC2:TRAP_HANDLER: 0
; COMPUTE_PGM_RSRC2:TGID_X_EN: 1
; COMPUTE_PGM_RSRC2:TGID_Y_EN: 0
; COMPUTE_PGM_RSRC2:TGID_Z_EN: 0
; COMPUTE_PGM_RSRC2:TIDIG_COMP_CNT: 0
	.text
	.p2alignl 6, 3214868480
	.fill 48, 4, 3214868480
	.type	__hip_cuid_54e629a1f46787e3,@object ; @__hip_cuid_54e629a1f46787e3
	.section	.bss,"aw",@nobits
	.globl	__hip_cuid_54e629a1f46787e3
__hip_cuid_54e629a1f46787e3:
	.byte	0                               ; 0x0
	.size	__hip_cuid_54e629a1f46787e3, 1

	.ident	"AMD clang version 19.0.0git (https://github.com/RadeonOpenCompute/llvm-project roc-6.4.0 25133 c7fe45cf4b819c5991fe208aaa96edf142730f1d)"
	.section	".note.GNU-stack","",@progbits
	.addrsig
	.addrsig_sym __hip_cuid_54e629a1f46787e3
	.amdgpu_metadata
---
amdhsa.kernels:
  - .args:
      - .actual_access:  read_only
        .address_space:  global
        .offset:         0
        .size:           8
        .value_kind:     global_buffer
      - .actual_access:  read_only
        .address_space:  global
        .offset:         8
        .size:           8
        .value_kind:     global_buffer
      - .actual_access:  read_only
        .address_space:  global
        .offset:         16
        .size:           8
        .value_kind:     global_buffer
      - .actual_access:  read_only
        .address_space:  global
        .offset:         24
        .size:           8
        .value_kind:     global_buffer
      - .actual_access:  read_only
        .address_space:  global
        .offset:         32
        .size:           8
        .value_kind:     global_buffer
      - .offset:         40
        .size:           8
        .value_kind:     by_value
      - .address_space:  global
        .offset:         48
        .size:           8
        .value_kind:     global_buffer
      - .address_space:  global
        .offset:         56
        .size:           8
        .value_kind:     global_buffer
      - .address_space:  global
        .offset:         64
        .size:           8
        .value_kind:     global_buffer
      - .address_space:  global
        .offset:         72
        .size:           8
        .value_kind:     global_buffer
      - .offset:         80
        .size:           4
        .value_kind:     by_value
      - .address_space:  global
        .offset:         88
        .size:           8
        .value_kind:     global_buffer
      - .address_space:  global
        .offset:         96
        .size:           8
        .value_kind:     global_buffer
    .group_segment_fixed_size: 9000
    .kernarg_segment_align: 8
    .kernarg_segment_size: 104
    .language:       OpenCL C
    .language_version:
      - 2
      - 0
    .max_flat_workgroup_size: 90
    .name:           bluestein_single_fwd_len2250_dim1_half_op_CI_CI
    .private_segment_fixed_size: 0
    .sgpr_count:     18
    .sgpr_spill_count: 0
    .symbol:         bluestein_single_fwd_len2250_dim1_half_op_CI_CI.kd
    .uniform_work_group_size: 1
    .uses_dynamic_stack: false
    .vgpr_count:     232
    .vgpr_spill_count: 0
    .wavefront_size: 32
    .workgroup_processor_mode: 1
amdhsa.target:   amdgcn-amd-amdhsa--gfx1030
amdhsa.version:
  - 1
  - 2
...

	.end_amdgpu_metadata
